;; amdgpu-corpus repo=ROCm/rocFFT kind=compiled arch=gfx1201 opt=O3
	.text
	.amdgcn_target "amdgcn-amd-amdhsa--gfx1201"
	.amdhsa_code_object_version 6
	.protected	bluestein_single_back_len484_dim1_dp_op_CI_CI ; -- Begin function bluestein_single_back_len484_dim1_dp_op_CI_CI
	.globl	bluestein_single_back_len484_dim1_dp_op_CI_CI
	.p2align	8
	.type	bluestein_single_back_len484_dim1_dp_op_CI_CI,@function
bluestein_single_back_len484_dim1_dp_op_CI_CI: ; @bluestein_single_back_len484_dim1_dp_op_CI_CI
; %bb.0:
	s_load_b128 s[8:11], s[0:1], 0x28
	v_mul_u32_u24_e32 v1, 0x5d2, v0
	s_mov_b32 s2, exec_lo
	v_mov_b32_e32 v3, 0
	s_delay_alu instid0(VALU_DEP_2) | instskip(NEXT) | instid1(VALU_DEP_1)
	v_lshrrev_b32_e32 v1, 16, v1
	v_add_nc_u32_e32 v2, ttmp9, v1
	s_wait_kmcnt 0x0
	s_delay_alu instid0(VALU_DEP_1)
	v_cmpx_gt_u64_e64 s[8:9], v[2:3]
	s_cbranch_execz .LBB0_15
; %bb.1:
	s_clause 0x1
	s_load_b128 s[4:7], s[0:1], 0x18
	s_load_b64 s[16:17], s[0:1], 0x0
	v_mul_lo_u16 v1, v1, 44
	v_mov_b32_e32 v3, v2
	s_movk_i32 s2, 0xfec1
	s_mov_b32 s3, -1
	s_delay_alu instid0(VALU_DEP_2)
	v_sub_nc_u16 v4, v0, v1
	scratch_store_b64 off, v[3:4], off offset:16 ; 8-byte Folded Spill
	s_wait_kmcnt 0x0
	s_load_b128 s[12:15], s[4:5], 0x0
	s_wait_kmcnt 0x0
	v_mad_co_u64_u32 v[8:9], null, s14, v2, 0
	v_and_b32_e32 v5, 0xffff, v4
	s_mul_u64 s[4:5], s[12:13], 0x79
	s_mul_u64 s[2:3], s[12:13], s[2:3]
	s_delay_alu instid0(SALU_CYCLE_1) | instskip(NEXT) | instid1(VALU_DEP_2)
	s_lshl_b64 s[2:3], s[2:3], 4
	v_mov_b32_e32 v0, v9
	v_mad_co_u64_u32 v[24:25], null, s12, v5, 0
	v_lshlrev_b32_e32 v181, 4, v5
	s_delay_alu instid0(VALU_DEP_2) | instskip(NEXT) | instid1(VALU_DEP_1)
	v_mov_b32_e32 v1, v25
	v_mad_co_u64_u32 v[2:3], null, s15, v2, v[0:1]
	s_delay_alu instid0(VALU_DEP_1)
	v_mad_co_u64_u32 v[10:11], null, s13, v5, v[1:2]
	v_mov_b32_e32 v9, v2
	s_clause 0x1
	global_load_b128 v[15:18], v181, s[16:17] offset:3872
	global_load_b128 v[11:14], v181, s[16:17] offset:5808
	v_lshlrev_b64_e32 v[26:27], 4, v[8:9]
	v_mov_b32_e32 v25, v10
	s_clause 0x3
	global_load_b128 v[6:9], v181, s[16:17]
	global_load_b128 v[19:22], v181, s[16:17] offset:704
	global_load_b128 v[98:101], v181, s[16:17] offset:1936
	;; [unrolled: 1-line block ×3, first 2 shown]
	v_add_co_u32 v0, vcc_lo, s10, v26
	v_lshlrev_b64_e32 v[24:25], 4, v[24:25]
	v_add_co_ci_u32_e32 v1, vcc_lo, s11, v27, vcc_lo
	s_lshl_b64 s[10:11], s[4:5], 4
	s_delay_alu instid0(VALU_DEP_2) | instskip(SKIP_1) | instid1(VALU_DEP_2)
	v_add_co_u32 v24, vcc_lo, v0, v24
	s_wait_alu 0xfffd
	v_add_co_ci_u32_e32 v25, vcc_lo, v1, v25, vcc_lo
	s_wait_alu 0xfffe
	s_delay_alu instid0(VALU_DEP_2) | instskip(SKIP_1) | instid1(VALU_DEP_2)
	v_add_co_u32 v26, vcc_lo, v24, s10
	s_wait_alu 0xfffd
	v_add_co_ci_u32_e32 v27, vcc_lo, s11, v25, vcc_lo
	s_clause 0x1
	global_load_b128 v[34:37], v[24:25], off
	global_load_b128 v[38:41], v[26:27], off
	v_add_co_u32 v28, vcc_lo, v26, s10
	s_wait_alu 0xfffd
	v_add_co_ci_u32_e32 v29, vcc_lo, s11, v27, vcc_lo
	s_delay_alu instid0(VALU_DEP_2) | instskip(SKIP_1) | instid1(VALU_DEP_2)
	v_add_co_u32 v30, vcc_lo, v28, s10
	s_wait_alu 0xfffd
	v_add_co_ci_u32_e32 v31, vcc_lo, s11, v29, vcc_lo
	s_clause 0x1
	global_load_b128 v[42:45], v[28:29], off
	global_load_b128 v[46:49], v[30:31], off
	v_add_co_u32 v24, vcc_lo, v30, s2
	s_wait_alu 0xfffd
	v_add_co_ci_u32_e32 v25, vcc_lo, s3, v31, vcc_lo
	s_delay_alu instid0(VALU_DEP_2) | instskip(SKIP_1) | instid1(VALU_DEP_2)
	v_add_co_u32 v26, vcc_lo, v24, s10
	s_wait_alu 0xfffd
	v_add_co_ci_u32_e32 v27, vcc_lo, s11, v25, vcc_lo
	global_load_b128 v[50:53], v[24:25], off
	v_add_co_u32 v28, vcc_lo, v26, s10
	s_wait_alu 0xfffd
	v_add_co_ci_u32_e32 v29, vcc_lo, s11, v27, vcc_lo
	global_load_b128 v[54:57], v[26:27], off
	v_add_co_u32 v32, vcc_lo, v28, s10
	s_wait_alu 0xfffd
	v_add_co_ci_u32_e32 v33, vcc_lo, s11, v29, vcc_lo
	global_load_b128 v[0:3], v181, s[16:17] offset:4576
	global_load_b128 v[58:61], v[28:29], off
	global_load_b128 v[23:26], v181, s[16:17] offset:6512
	global_load_b128 v[62:65], v[32:33], off
	v_cmp_gt_u16_e32 vcc_lo, 33, v4
	s_wait_loadcnt 0xf
	scratch_store_b128 off, v[15:18], off offset:48 ; 16-byte Folded Spill
	s_wait_loadcnt 0xe
	scratch_store_b128 off, v[11:14], off offset:32 ; 16-byte Folded Spill
	;; [unrolled: 2-line block ×6, first 2 shown]
	s_wait_loadcnt 0x9
	v_mul_f64_e32 v[66:67], v[36:37], v[8:9]
	v_mul_f64_e32 v[68:69], v[34:35], v[8:9]
	s_wait_loadcnt 0x8
	v_mul_f64_e32 v[70:71], v[40:41], v[100:101]
	v_mul_f64_e32 v[72:73], v[38:39], v[100:101]
	;; [unrolled: 3-line block ×6, first 2 shown]
	s_wait_loadcnt 0x3
	scratch_store_b128 off, v[0:3], off offset:128 ; 16-byte Folded Spill
	s_wait_loadcnt 0x2
	v_mul_f64_e32 v[90:91], v[60:61], v[2:3]
	s_wait_loadcnt 0x1
	scratch_store_b128 off, v[23:26], off offset:144 ; 16-byte Folded Spill
	v_mul_f64_e32 v[92:93], v[58:59], v[2:3]
	s_wait_loadcnt 0x0
	v_mul_f64_e32 v[94:95], v[64:65], v[25:26]
	v_mul_f64_e32 v[96:97], v[62:63], v[25:26]
	s_load_b64 s[8:9], s[0:1], 0x38
	s_load_b128 s[4:7], s[6:7], 0x0
	v_fma_f64 v[34:35], v[34:35], v[6:7], v[66:67]
	v_fma_f64 v[36:37], v[36:37], v[6:7], -v[68:69]
	v_fma_f64 v[38:39], v[38:39], v[98:99], v[70:71]
	v_fma_f64 v[40:41], v[40:41], v[98:99], -v[72:73]
	;; [unrolled: 2-line block ×6, first 2 shown]
	ds_store_b128 v181, v[34:37]
	ds_store_b128 v181, v[50:53] offset:704
	ds_store_b128 v181, v[38:41] offset:1936
	;; [unrolled: 1-line block ×3, first 2 shown]
	v_fma_f64 v[58:59], v[58:59], v[0:1], v[90:91]
	v_fma_f64 v[60:61], v[60:61], v[0:1], -v[92:93]
	v_fma_f64 v[62:63], v[62:63], v[23:24], v[94:95]
	v_fma_f64 v[64:65], v[64:65], v[23:24], -v[96:97]
	v_add_co_u32 v0, s12, s16, v181
	s_wait_alu 0xf1ff
	v_add_co_ci_u32_e64 v1, null, s17, 0, s12
	ds_store_b128 v181, v[42:45] offset:3872
	ds_store_b128 v181, v[58:61] offset:4576
	;; [unrolled: 1-line block ×4, first 2 shown]
	s_and_saveexec_b32 s12, vcc_lo
	s_cbranch_execz .LBB0_3
; %bb.2:
	v_add_co_u32 v36, s2, v32, s2
	s_wait_alu 0xf1ff
	v_add_co_ci_u32_e64 v37, s2, s3, v33, s2
	s_delay_alu instid0(VALU_DEP_2) | instskip(SKIP_1) | instid1(VALU_DEP_2)
	v_add_co_u32 v40, s2, v36, s10
	s_wait_alu 0xf1ff
	v_add_co_ci_u32_e64 v41, s2, s11, v37, s2
	global_load_b128 v[32:35], v[36:37], off
	v_add_co_u32 v48, s2, v40, s10
	s_wait_alu 0xf1ff
	v_add_co_ci_u32_e64 v49, s2, s11, v41, s2
	global_load_b128 v[36:39], v[0:1], off offset:1408
	v_add_co_u32 v60, s2, v48, s10
	global_load_b128 v[40:43], v[40:41], off
	s_wait_alu 0xf1ff
	v_add_co_ci_u32_e64 v61, s2, s11, v49, s2
	global_load_b128 v[44:47], v[0:1], off offset:3344
	global_load_b128 v[48:51], v[48:49], off
	s_clause 0x1
	global_load_b128 v[52:55], v[0:1], off offset:5280
	global_load_b128 v[56:59], v[0:1], off offset:7216
	global_load_b128 v[60:63], v[60:61], off
	s_wait_loadcnt 0x6
	v_mul_f64_e32 v[64:65], v[34:35], v[38:39]
	v_mul_f64_e32 v[38:39], v[32:33], v[38:39]
	s_wait_loadcnt 0x4
	v_mul_f64_e32 v[66:67], v[42:43], v[46:47]
	v_mul_f64_e32 v[46:47], v[40:41], v[46:47]
	;; [unrolled: 3-line block ×4, first 2 shown]
	v_fma_f64 v[32:33], v[32:33], v[36:37], v[64:65]
	v_fma_f64 v[34:35], v[34:35], v[36:37], -v[38:39]
	v_fma_f64 v[36:37], v[40:41], v[44:45], v[66:67]
	v_fma_f64 v[38:39], v[42:43], v[44:45], -v[46:47]
	;; [unrolled: 2-line block ×4, first 2 shown]
	ds_store_b128 v181, v[32:35] offset:1408
	ds_store_b128 v181, v[36:39] offset:3344
	;; [unrolled: 1-line block ×4, first 2 shown]
.LBB0_3:
	s_wait_alu 0xfffe
	s_or_b32 exec_lo, exec_lo, s12
	global_wb scope:SCOPE_SE
	s_wait_storecnt_dscnt 0x0
	s_wait_kmcnt 0x0
	s_barrier_signal -1
	s_barrier_wait -1
	global_inv scope:SCOPE_SE
	ds_load_b128 v[44:47], v181
	ds_load_b128 v[48:51], v181 offset:704
	ds_load_b128 v[56:59], v181 offset:1936
	;; [unrolled: 1-line block ×7, first 2 shown]
	s_load_b64 s[24:25], s[0:1], 0x8
                                        ; implicit-def: $vgpr32_vgpr33
                                        ; implicit-def: $vgpr60_vgpr61
                                        ; implicit-def: $vgpr40_vgpr41
                                        ; implicit-def: $vgpr36_vgpr37
	s_and_saveexec_b32 s0, vcc_lo
	s_cbranch_execz .LBB0_5
; %bb.4:
	ds_load_b128 v[32:35], v181 offset:1408
	ds_load_b128 v[36:39], v181 offset:3344
	;; [unrolled: 1-line block ×4, first 2 shown]
.LBB0_5:
	s_wait_alu 0xfffe
	s_or_b32 exec_lo, exec_lo, s0
	s_wait_dscnt 0x3
	v_add_f64_e64 v[76:77], v[44:45], -v[76:77]
	v_add_f64_e64 v[78:79], v[46:47], -v[78:79]
	s_wait_dscnt 0x1
	v_add_f64_e64 v[72:73], v[56:57], -v[72:73]
	v_add_f64_e64 v[80:81], v[48:49], -v[68:69]
	;; [unrolled: 1-line block ×3, first 2 shown]
	s_wait_dscnt 0x0
	v_add_f64_e64 v[82:83], v[52:53], -v[64:65]
	v_add_f64_e64 v[64:65], v[54:55], -v[66:67]
	;; [unrolled: 1-line block ×3, first 2 shown]
	scratch_store_b64 off, v[0:1], off offset:24 ; 8-byte Folded Spill
	v_fma_f64 v[86:87], v[44:45], 2.0, -v[76:77]
	v_fma_f64 v[88:89], v[46:47], 2.0, -v[78:79]
	;; [unrolled: 1-line block ×8, first 2 shown]
	v_add_f64_e64 v[44:45], v[32:33], -v[40:41]
	v_add_f64_e64 v[56:57], v[80:81], -v[64:65]
	;; [unrolled: 1-line block ×3, first 2 shown]
	v_add_f64_e32 v[54:55], v[78:79], v[72:73]
	v_add_f64_e64 v[64:65], v[86:87], -v[46:47]
	v_add_f64_e64 v[46:47], v[34:35], -v[42:43]
	v_add_f64_e64 v[68:69], v[90:91], -v[48:49]
	v_add_f64_e64 v[70:71], v[92:93], -v[50:51]
	v_add_f64_e64 v[50:51], v[38:39], -v[62:63]
	v_add_f64_e64 v[48:49], v[36:37], -v[60:61]
	v_add_f64_e64 v[66:67], v[88:89], -v[58:59]
	v_add_f64_e32 v[58:59], v[84:85], v[82:83]
	v_fma_f64 v[60:61], v[76:77], 2.0, -v[52:53]
	v_fma_f64 v[62:63], v[78:79], 2.0, -v[54:55]
	;; [unrolled: 1-line block ×6, first 2 shown]
	v_add_f64_e64 v[0:1], v[44:45], -v[50:51]
	v_add_f64_e32 v[2:3], v[46:47], v[48:49]
	v_fma_f64 v[78:79], v[88:89], 2.0, -v[66:67]
	v_fma_f64 v[74:75], v[84:85], 2.0, -v[58:59]
	scratch_store_b128 off, v[0:3], off     ; 16-byte Folded Spill
	v_lshlrev_b16 v0, 2, v5
	v_add_co_u32 v1, null, 0x58, v5
	v_lshlrev_b32_e32 v3, 6, v5
	global_wb scope:SCOPE_SE
	s_wait_storecnt 0x0
	v_and_b32_e32 v0, 0xffff, v0
	s_wait_kmcnt 0x0
	s_barrier_signal -1
	s_barrier_wait -1
	global_inv scope:SCOPE_SE
	v_lshlrev_b32_e32 v2, 4, v0
	v_lshlrev_b32_e32 v0, 6, v1
	scratch_store_b32 off, v0, off offset:176 ; 4-byte Folded Spill
	ds_store_b128 v2, v[64:67] offset:32
	ds_store_b128 v2, v[52:55] offset:48
	ds_store_b128 v2, v[76:79]
	scratch_store_b32 off, v2, off offset:180 ; 4-byte Folded Spill
	ds_store_b128 v2, v[60:63] offset:16
	ds_store_b128 v3, v[80:83] offset:2816
	;; [unrolled: 1-line block ×4, first 2 shown]
	scratch_store_b32 off, v3, off offset:184 ; 4-byte Folded Spill
	ds_store_b128 v3, v[56:59] offset:2864
	s_and_saveexec_b32 s0, vcc_lo
	s_cbranch_execz .LBB0_7
; %bb.6:
	s_clause 0x1
	scratch_load_b128 v[1:4], off, off
	scratch_load_b32 v0, off, off offset:176
	v_fma_f64 v[52:53], v[34:35], 2.0, -v[46:47]
	v_fma_f64 v[34:35], v[38:39], 2.0, -v[50:51]
	;; [unrolled: 1-line block ×4, first 2 shown]
	s_delay_alu instid0(VALU_DEP_3) | instskip(NEXT) | instid1(VALU_DEP_2)
	v_add_f64_e64 v[34:35], v[52:53], -v[34:35]
	v_add_f64_e64 v[32:33], v[50:51], -v[32:33]
	s_delay_alu instid0(VALU_DEP_2) | instskip(SKIP_2) | instid1(VALU_DEP_3)
	v_fma_f64 v[48:49], v[52:53], 2.0, -v[34:35]
	s_wait_loadcnt 0x1
	v_fma_f64 v[38:39], v[46:47], 2.0, -v[3:4]
	v_fma_f64 v[46:47], v[50:51], 2.0, -v[32:33]
	;; [unrolled: 1-line block ×3, first 2 shown]
	s_wait_loadcnt 0x0
	ds_store_b128 v0, v[46:49]
	ds_store_b128 v0, v[36:39] offset:16
	ds_store_b128 v0, v[32:35] offset:32
	;; [unrolled: 1-line block ×3, first 2 shown]
.LBB0_7:
	s_wait_alu 0xfffe
	s_or_b32 exec_lo, exec_lo, s0
	v_and_b32_e32 v120, 3, v5
	global_wb scope:SCOPE_SE
	s_wait_storecnt_dscnt 0x0
	s_barrier_signal -1
	s_barrier_wait -1
	global_inv scope:SCOPE_SE
	v_mul_u32_u24_e32 v0, 10, v120
	s_mov_b32 s28, 0xf8bb580b
	s_mov_b32 s22, 0x8eee2c13
	;; [unrolled: 1-line block ×4, first 2 shown]
	v_lshlrev_b32_e32 v68, 4, v0
	s_mov_b32 s14, 0xfd768dbf
	s_mov_b32 s29, 0xbfe14ced
	;; [unrolled: 1-line block ×4, first 2 shown]
	s_clause 0x3
	global_load_b128 v[36:39], v68, s[24:25]
	global_load_b128 v[0:3], v68, s[24:25] offset:144
	global_load_b128 v[44:47], v68, s[24:25] offset:16
	;; [unrolled: 1-line block ×3, first 2 shown]
	ds_load_b128 v[52:55], v181 offset:704
	ds_load_b128 v[56:59], v181 offset:7040
	ds_load_b128 v[121:124], v181
	s_mov_b32 s19, 0xbfe82f19
	s_mov_b32 s15, 0xbfd207e7
	;; [unrolled: 1-line block ×13, first 2 shown]
	s_wait_alu 0xfffe
	s_mov_b32 s38, s14
	s_mov_b32 s37, 0x3fefac9e
	;; [unrolled: 1-line block ×7, first 2 shown]
	s_wait_loadcnt_dscnt 0x302
	v_mul_f64_e32 v[60:61], v[54:55], v[38:39]
	v_mul_f64_e32 v[62:63], v[52:53], v[38:39]
	s_wait_loadcnt_dscnt 0x201
	v_mul_f64_e32 v[66:67], v[58:59], v[2:3]
	v_mul_f64_e32 v[64:65], v[56:57], v[2:3]
	scratch_store_b128 off, v[0:3], off offset:160 ; 16-byte Folded Spill
	v_fma_f64 v[114:115], v[52:53], v[36:37], -v[60:61]
	v_fma_f64 v[116:117], v[54:55], v[36:37], v[62:63]
	ds_load_b128 v[52:55], v181 offset:1408
	ds_load_b128 v[60:63], v181 offset:2112
	v_fma_f64 v[78:79], v[56:57], v[0:1], -v[66:67]
	v_fma_f64 v[76:77], v[58:59], v[0:1], v[64:65]
	s_wait_loadcnt_dscnt 0x101
	v_mul_f64_e32 v[56:57], v[54:55], v[46:47]
	s_delay_alu instid0(VALU_DEP_3) | instskip(NEXT) | instid1(VALU_DEP_3)
	v_add_f64_e32 v[131:132], v[114:115], v[78:79]
	v_add_f64_e32 v[151:152], v[116:117], v[76:77]
	s_delay_alu instid0(VALU_DEP_3) | instskip(SKIP_1) | instid1(VALU_DEP_1)
	v_fma_f64 v[84:85], v[52:53], v[44:45], -v[56:57]
	v_mul_f64_e32 v[52:53], v[52:53], v[46:47]
	v_fma_f64 v[86:87], v[54:55], v[44:45], v[52:53]
	ds_load_b128 v[52:55], v181 offset:6336
	ds_load_b128 v[69:72], v181 offset:5632
	s_wait_loadcnt_dscnt 0x1
	v_mul_f64_e32 v[56:57], v[52:53], v[50:51]
	s_delay_alu instid0(VALU_DEP_1) | instskip(SKIP_1) | instid1(VALU_DEP_2)
	v_fma_f64 v[80:81], v[54:55], v[48:49], v[56:57]
	v_mul_f64_e32 v[54:55], v[54:55], v[50:51]
	v_add_f64_e64 v[173:174], v[86:87], -v[80:81]
	s_delay_alu instid0(VALU_DEP_2)
	v_fma_f64 v[82:83], v[52:53], v[48:49], -v[54:55]
	s_clause 0x1
	global_load_b128 v[56:59], v68, s[24:25] offset:32
	global_load_b128 v[52:55], v68, s[24:25] offset:48
	v_add_f64_e32 v[186:187], v[86:87], v[80:81]
	v_mul_f64_e32 v[177:178], s[22:23], v[173:174]
	v_add_f64_e32 v[175:176], v[84:85], v[82:83]
	v_add_f64_e64 v[179:180], v[84:85], -v[82:83]
	v_mul_f64_e32 v[226:227], s[18:19], v[173:174]
	v_mul_f64_e32 v[240:241], s[38:39], v[173:174]
	s_delay_alu instid0(VALU_DEP_3)
	v_mul_f64_e32 v[188:189], s[22:23], v[179:180]
	v_mul_f64_e32 v[228:229], s[18:19], v[179:180]
	;; [unrolled: 1-line block ×4, first 2 shown]
	s_wait_loadcnt 0x1
	v_mul_f64_e32 v[64:65], v[62:63], v[58:59]
	s_delay_alu instid0(VALU_DEP_1) | instskip(SKIP_1) | instid1(VALU_DEP_1)
	v_fma_f64 v[92:93], v[60:61], v[56:57], -v[64:65]
	v_mul_f64_e32 v[60:61], v[60:61], v[58:59]
	v_fma_f64 v[94:95], v[62:63], v[56:57], v[60:61]
	s_clause 0x1
	global_load_b128 v[64:67], v68, s[24:25] offset:112
	global_load_b128 v[60:63], v68, s[24:25] offset:96
	s_wait_loadcnt_dscnt 0x100
	v_mul_f64_e32 v[73:74], v[69:70], v[66:67]
	s_delay_alu instid0(VALU_DEP_1) | instskip(SKIP_1) | instid1(VALU_DEP_2)
	v_fma_f64 v[88:89], v[71:72], v[64:65], v[73:74]
	v_mul_f64_e32 v[71:72], v[71:72], v[66:67]
	v_add_f64_e64 v[190:191], v[94:95], -v[88:89]
	s_delay_alu instid0(VALU_DEP_2)
	v_fma_f64 v[90:91], v[69:70], v[64:65], -v[71:72]
	ds_load_b128 v[69:72], v181 offset:2816
	ds_load_b128 v[102:105], v181 offset:3520
	v_add_f64_e32 v[198:199], v[94:95], v[88:89]
	s_wait_dscnt 0x1
	v_mul_f64_e32 v[73:74], v[71:72], v[54:55]
	v_mul_f64_e32 v[194:195], s[20:21], v[190:191]
	v_add_f64_e32 v[192:193], v[92:93], v[90:91]
	v_add_f64_e64 v[196:197], v[92:93], -v[90:91]
	v_mul_f64_e32 v[244:245], s[34:35], v[190:191]
	v_fma_f64 v[96:97], v[69:70], v[52:53], -v[73:74]
	v_mul_f64_e32 v[69:70], v[69:70], v[54:55]
	s_delay_alu instid0(VALU_DEP_4)
	v_mul_f64_e32 v[200:201], s[20:21], v[196:197]
	v_mul_f64_e32 v[230:231], s[38:39], v[196:197]
	;; [unrolled: 1-line block ×4, first 2 shown]
	v_fma_f64 v[98:99], v[71:72], v[52:53], v[69:70]
	s_clause 0x1
	global_load_b128 v[72:75], v68, s[24:25] offset:64
	global_load_b128 v[68:71], v68, s[24:25] offset:80
	ds_load_b128 v[106:109], v181 offset:4224
	ds_load_b128 v[110:113], v181 offset:4928
	global_wb scope:SCOPE_SE
	s_wait_storecnt 0x0
	s_wait_loadcnt_dscnt 0x0
	s_barrier_signal -1
	s_barrier_wait -1
	global_inv scope:SCOPE_SE
	v_mul_f64_e32 v[100:101], v[104:105], v[74:75]
	s_delay_alu instid0(VALU_DEP_1) | instskip(SKIP_1) | instid1(VALU_DEP_1)
	v_fma_f64 v[100:101], v[102:103], v[72:73], -v[100:101]
	v_mul_f64_e32 v[102:103], v[102:103], v[74:75]
	v_fma_f64 v[102:103], v[104:105], v[72:73], v[102:103]
	v_mul_f64_e32 v[104:105], v[108:109], v[70:71]
	s_delay_alu instid0(VALU_DEP_1) | instskip(SKIP_1) | instid1(VALU_DEP_2)
	v_fma_f64 v[104:105], v[106:107], v[68:69], -v[104:105]
	v_mul_f64_e32 v[106:107], v[106:107], v[70:71]
	v_add_f64_e32 v[216:217], v[100:101], v[104:105]
	s_delay_alu instid0(VALU_DEP_2) | instskip(SKIP_2) | instid1(VALU_DEP_3)
	v_fma_f64 v[106:107], v[108:109], v[68:69], v[106:107]
	v_mul_f64_e32 v[108:109], v[112:113], v[62:63]
	v_add_f64_e64 v[220:221], v[100:101], -v[104:105]
	v_add_f64_e64 v[214:215], v[102:103], -v[106:107]
	s_delay_alu instid0(VALU_DEP_3)
	v_fma_f64 v[108:109], v[110:111], v[60:61], -v[108:109]
	v_mul_f64_e32 v[110:111], v[110:111], v[62:63]
	v_add_f64_e32 v[222:223], v[102:103], v[106:107]
	v_mul_f64_e32 v[224:225], s[14:15], v[220:221]
	v_mul_f64_e32 v[238:239], s[30:31], v[220:221]
	;; [unrolled: 1-line block ×4, first 2 shown]
	v_add_f64_e32 v[204:205], v[96:97], v[108:109]
	v_fma_f64 v[110:111], v[112:113], v[60:61], v[110:111]
	v_add_f64_e64 v[112:113], v[116:117], -v[76:77]
	v_add_f64_e64 v[208:209], v[96:97], -v[108:109]
	v_mul_f64_e32 v[236:237], s[30:31], v[214:215]
	v_mul_f64_e32 v[252:253], s[18:19], v[214:215]
	;; [unrolled: 1-line block ×3, first 2 shown]
	v_add_f64_e64 v[202:203], v[98:99], -v[110:111]
	v_mul_f64_e32 v[118:119], s[28:29], v[112:113]
	v_mul_f64_e32 v[125:126], s[22:23], v[112:113]
	;; [unrolled: 1-line block ×5, first 2 shown]
	v_add_f64_e32 v[210:211], v[98:99], v[110:111]
	v_mul_f64_e32 v[212:213], s[18:19], v[208:209]
	v_mul_f64_e32 v[234:235], s[36:37], v[208:209]
	;; [unrolled: 1-line block ×4, first 2 shown]
	v_fma_f64 v[2:3], v[216:217], s[10:11], -v[0:1]
	v_fma_f64 v[0:1], v[216:217], s[10:11], v[0:1]
	v_mul_f64_e32 v[206:207], s[18:19], v[202:203]
	v_fma_f64 v[133:134], v[131:132], s[26:27], -v[118:119]
	v_fma_f64 v[135:136], v[131:132], s[26:27], v[118:119]
	v_fma_f64 v[137:138], v[131:132], s[10:11], -v[125:126]
	v_fma_f64 v[125:126], v[131:132], s[10:11], v[125:126]
	;; [unrolled: 2-line block ×5, first 2 shown]
	v_add_f64_e64 v[112:113], v[114:115], -v[78:79]
	v_mul_f64_e32 v[232:233], s[36:37], v[202:203]
	v_mul_f64_e32 v[248:249], s[28:29], v[202:203]
	;; [unrolled: 1-line block ×3, first 2 shown]
	v_add_f64_e32 v[137:138], v[121:122], v[137:138]
	v_add_f64_e32 v[139:140], v[121:122], v[139:140]
	;; [unrolled: 1-line block ×5, first 2 shown]
	v_mul_f64_e32 v[118:119], s[28:29], v[112:113]
	v_mul_f64_e32 v[145:146], s[22:23], v[112:113]
	;; [unrolled: 1-line block ×5, first 2 shown]
	v_fma_f64 v[131:132], v[186:187], s[0:1], v[242:243]
	v_fma_f64 v[153:154], v[151:152], s[26:27], v[118:119]
	v_fma_f64 v[155:156], v[151:152], s[26:27], -v[118:119]
	v_fma_f64 v[157:158], v[151:152], s[10:11], v[145:146]
	v_fma_f64 v[145:146], v[151:152], s[10:11], -v[145:146]
	;; [unrolled: 2-line block ×5, first 2 shown]
	v_add_f64_e32 v[112:113], v[121:122], v[114:115]
	v_add_f64_e32 v[114:115], v[123:124], v[116:117]
	;; [unrolled: 1-line block ×14, first 2 shown]
	v_fma_f64 v[121:122], v[175:176], s[10:11], v[177:178]
	v_add_f64_e32 v[149:150], v[123:124], v[149:150]
	v_add_f64_e32 v[167:168], v[123:124], v[167:168]
	;; [unrolled: 1-line block ×3, first 2 shown]
	v_fma_f64 v[123:124], v[186:187], s[10:11], -v[188:189]
	v_fma_f64 v[125:126], v[192:193], s[12:13], v[194:195]
	v_fma_f64 v[127:128], v[186:187], s[2:3], v[228:229]
	v_add_f64_e32 v[131:132], v[131:132], v[145:146]
	v_mul_f64_e32 v[145:146], s[36:37], v[173:174]
	v_add_f64_e32 v[121:122], v[121:122], v[133:134]
	v_fma_f64 v[133:134], v[192:193], s[10:11], -v[244:245]
	v_add_f64_e32 v[123:124], v[123:124], v[135:136]
	v_fma_f64 v[135:136], v[186:187], s[12:13], v[159:160]
	v_add_f64_e32 v[127:128], v[127:128], v[153:154]
	v_mul_f64_e32 v[153:154], s[38:39], v[190:191]
	v_add_f64_e32 v[121:122], v[125:126], v[121:122]
	v_fma_f64 v[125:126], v[198:199], s[12:13], -v[200:201]
	v_add_f64_e32 v[135:136], v[135:136], v[147:148]
	v_mul_f64_e32 v[147:148], s[28:29], v[190:191]
	v_fma_f64 v[129:130], v[192:193], s[0:1], -v[153:154]
	v_fma_f64 v[153:154], v[192:193], s[0:1], v[153:154]
	v_add_f64_e32 v[123:124], v[125:126], v[123:124]
	v_fma_f64 v[125:126], v[204:205], s[2:3], v[206:207]
	s_delay_alu instid0(VALU_DEP_1) | instskip(SKIP_1) | instid1(VALU_DEP_1)
	v_add_f64_e32 v[121:122], v[125:126], v[121:122]
	v_fma_f64 v[125:126], v[210:211], s[2:3], -v[212:213]
	v_add_f64_e32 v[123:124], v[125:126], v[123:124]
	v_fma_f64 v[125:126], v[216:217], s[0:1], v[218:219]
	s_delay_alu instid0(VALU_DEP_1) | instskip(SKIP_1) | instid1(VALU_DEP_1)
	v_add_f64_e32 v[121:122], v[125:126], v[121:122]
	v_fma_f64 v[125:126], v[222:223], s[0:1], -v[224:225]
	v_add_f64_e32 v[123:124], v[125:126], v[123:124]
	v_fma_f64 v[125:126], v[175:176], s[2:3], -v[226:227]
	s_delay_alu instid0(VALU_DEP_1) | instskip(SKIP_2) | instid1(VALU_DEP_3)
	v_add_f64_e32 v[125:126], v[125:126], v[137:138]
	v_fma_f64 v[137:138], v[192:193], s[26:27], -v[147:148]
	v_fma_f64 v[147:148], v[192:193], s[26:27], v[147:148]
	v_add_f64_e32 v[125:126], v[129:130], v[125:126]
	v_fma_f64 v[129:130], v[198:199], s[0:1], v[230:231]
	s_delay_alu instid0(VALU_DEP_1) | instskip(SKIP_1) | instid1(VALU_DEP_1)
	v_add_f64_e32 v[127:128], v[129:130], v[127:128]
	v_fma_f64 v[129:130], v[204:205], s[12:13], -v[232:233]
	v_add_f64_e32 v[125:126], v[129:130], v[125:126]
	v_fma_f64 v[129:130], v[210:211], s[12:13], v[234:235]
	s_delay_alu instid0(VALU_DEP_1) | instskip(SKIP_1) | instid1(VALU_DEP_1)
	v_add_f64_e32 v[127:128], v[129:130], v[127:128]
	v_fma_f64 v[129:130], v[216:217], s[26:27], -v[236:237]
	;; [unrolled: 5-line block ×3, first 2 shown]
	v_add_f64_e32 v[129:130], v[129:130], v[139:140]
	s_delay_alu instid0(VALU_DEP_1) | instskip(SKIP_1) | instid1(VALU_DEP_1)
	v_add_f64_e32 v[129:130], v[133:134], v[129:130]
	v_fma_f64 v[133:134], v[198:199], s[10:11], v[246:247]
	v_add_f64_e32 v[131:132], v[133:134], v[131:132]
	v_fma_f64 v[133:134], v[204:205], s[26:27], -v[248:249]
	s_delay_alu instid0(VALU_DEP_1) | instskip(SKIP_1) | instid1(VALU_DEP_1)
	v_add_f64_e32 v[129:130], v[133:134], v[129:130]
	v_fma_f64 v[133:134], v[210:211], s[26:27], v[250:251]
	v_add_f64_e32 v[131:132], v[133:134], v[131:132]
	v_fma_f64 v[133:134], v[216:217], s[2:3], -v[252:253]
	;; [unrolled: 5-line block ×3, first 2 shown]
	v_fma_f64 v[145:146], v[175:176], s[12:13], v[145:146]
	s_delay_alu instid0(VALU_DEP_2) | instskip(SKIP_1) | instid1(VALU_DEP_3)
	v_add_f64_e32 v[133:134], v[133:134], v[141:142]
	v_mul_f64_e32 v[141:142], s[30:31], v[173:174]
	v_add_f64_e32 v[145:146], v[145:146], v[165:166]
	s_delay_alu instid0(VALU_DEP_3) | instskip(SKIP_1) | instid1(VALU_DEP_3)
	v_add_f64_e32 v[133:134], v[137:138], v[133:134]
	v_fma_f64 v[137:138], v[198:199], s[26:27], v[182:183]
	v_add_f64_e32 v[145:146], v[147:148], v[145:146]
	v_fma_f64 v[147:148], v[198:199], s[26:27], -v[182:183]
	s_delay_alu instid0(VALU_DEP_3) | instskip(SKIP_1) | instid1(VALU_DEP_1)
	v_add_f64_e32 v[135:136], v[137:138], v[135:136]
	v_fma_f64 v[137:138], v[204:205], s[0:1], -v[184:185]
	v_add_f64_e32 v[133:134], v[137:138], v[133:134]
	v_fma_f64 v[137:138], v[210:211], s[0:1], v[161:162]
	s_delay_alu instid0(VALU_DEP_2) | instskip(SKIP_1) | instid1(VALU_DEP_3)
	v_add_f64_e32 v[133:134], v[2:3], v[133:134]
	v_mul_f64_e32 v[2:3], s[34:35], v[220:221]
	v_add_f64_e32 v[135:136], v[137:138], v[135:136]
	s_delay_alu instid0(VALU_DEP_2) | instskip(SKIP_1) | instid1(VALU_DEP_2)
	v_fma_f64 v[137:138], v[222:223], s[10:11], v[2:3]
	v_fma_f64 v[2:3], v[222:223], s[10:11], -v[2:3]
	v_add_f64_e32 v[135:136], v[137:138], v[135:136]
	v_fma_f64 v[137:138], v[175:176], s[26:27], -v[141:142]
	v_fma_f64 v[141:142], v[175:176], s[26:27], v[141:142]
	s_delay_alu instid0(VALU_DEP_2) | instskip(SKIP_1) | instid1(VALU_DEP_3)
	v_add_f64_e32 v[137:138], v[137:138], v[143:144]
	v_mul_f64_e32 v[143:144], s[30:31], v[179:180]
	v_add_f64_e32 v[141:142], v[141:142], v[171:172]
	s_delay_alu instid0(VALU_DEP_2) | instskip(SKIP_1) | instid1(VALU_DEP_2)
	v_fma_f64 v[139:140], v[186:187], s[26:27], v[143:144]
	v_fma_f64 v[143:144], v[186:187], s[26:27], -v[143:144]
	v_add_f64_e32 v[139:140], v[139:140], v[167:168]
	v_mul_f64_e32 v[167:168], s[18:19], v[190:191]
	s_delay_alu instid0(VALU_DEP_3) | instskip(NEXT) | instid1(VALU_DEP_2)
	v_add_f64_e32 v[143:144], v[143:144], v[151:152]
	v_fma_f64 v[173:174], v[192:193], s[2:3], -v[167:168]
	v_fma_f64 v[151:152], v[192:193], s[2:3], v[167:168]
	s_delay_alu instid0(VALU_DEP_2) | instskip(SKIP_1) | instid1(VALU_DEP_3)
	v_add_f64_e32 v[137:138], v[173:174], v[137:138]
	v_mul_f64_e32 v[173:174], s[18:19], v[196:197]
	v_add_f64_e32 v[141:142], v[151:152], v[141:142]
	s_delay_alu instid0(VALU_DEP_2) | instskip(SKIP_1) | instid1(VALU_DEP_2)
	v_fma_f64 v[179:180], v[198:199], s[2:3], v[173:174]
	v_fma_f64 v[151:152], v[198:199], s[2:3], -v[173:174]
	v_add_f64_e32 v[139:140], v[179:180], v[139:140]
	v_mul_f64_e32 v[179:180], s[34:35], v[202:203]
	s_delay_alu instid0(VALU_DEP_3) | instskip(SKIP_1) | instid1(VALU_DEP_3)
	v_add_f64_e32 v[143:144], v[151:152], v[143:144]
	v_mul_f64_e32 v[202:203], s[20:21], v[220:221]
	v_fma_f64 v[190:191], v[204:205], s[10:11], -v[179:180]
	v_fma_f64 v[151:152], v[204:205], s[10:11], v[179:180]
	s_delay_alu instid0(VALU_DEP_3) | instskip(NEXT) | instid1(VALU_DEP_3)
	v_fma_f64 v[167:168], v[222:223], s[12:13], -v[202:203]
	v_add_f64_e32 v[137:138], v[190:191], v[137:138]
	v_mul_f64_e32 v[190:191], s[34:35], v[208:209]
	s_delay_alu instid0(VALU_DEP_4) | instskip(NEXT) | instid1(VALU_DEP_2)
	v_add_f64_e32 v[141:142], v[151:152], v[141:142]
	v_fma_f64 v[196:197], v[210:211], s[10:11], v[190:191]
	v_fma_f64 v[151:152], v[210:211], s[10:11], -v[190:191]
	s_delay_alu instid0(VALU_DEP_2) | instskip(SKIP_1) | instid1(VALU_DEP_3)
	v_add_f64_e32 v[139:140], v[196:197], v[139:140]
	v_mul_f64_e32 v[196:197], s[20:21], v[214:215]
	v_add_f64_e32 v[143:144], v[151:152], v[143:144]
	s_delay_alu instid0(VALU_DEP_2) | instskip(SKIP_1) | instid1(VALU_DEP_3)
	v_fma_f64 v[151:152], v[216:217], s[12:13], v[196:197]
	v_fma_f64 v[208:209], v[216:217], s[12:13], -v[196:197]
	v_add_f64_e32 v[143:144], v[167:168], v[143:144]
	s_delay_alu instid0(VALU_DEP_3) | instskip(SKIP_4) | instid1(VALU_DEP_4)
	v_add_f64_e32 v[141:142], v[151:152], v[141:142]
	v_fma_f64 v[151:152], v[186:187], s[12:13], -v[159:160]
	v_fma_f64 v[159:160], v[198:199], s[12:13], v[200:201]
	v_add_f64_e32 v[137:138], v[208:209], v[137:138]
	v_fma_f64 v[208:209], v[222:223], s[12:13], v[202:203]
	v_add_f64_e32 v[149:150], v[151:152], v[149:150]
	v_fma_f64 v[151:152], v[222:223], s[2:3], -v[254:255]
	v_mov_b32_e32 v255, v5
	s_delay_alu instid0(VALU_DEP_4) | instskip(NEXT) | instid1(VALU_DEP_4)
	v_add_f64_e32 v[139:140], v[208:209], v[139:140]
	v_add_f64_e32 v[147:148], v[147:148], v[149:150]
	v_fma_f64 v[149:150], v[204:205], s[0:1], v[184:185]
	s_delay_alu instid0(VALU_DEP_1) | instskip(SKIP_1) | instid1(VALU_DEP_2)
	v_add_f64_e32 v[145:146], v[149:150], v[145:146]
	v_fma_f64 v[149:150], v[210:211], s[0:1], -v[161:162]
	v_add_f64_e32 v[145:146], v[0:1], v[145:146]
	s_delay_alu instid0(VALU_DEP_2) | instskip(SKIP_2) | instid1(VALU_DEP_3)
	v_add_f64_e32 v[147:148], v[149:150], v[147:148]
	v_fma_f64 v[0:1], v[175:176], s[0:1], v[240:241]
	v_fma_f64 v[149:150], v[192:193], s[10:11], v[244:245]
	v_add_f64_e32 v[147:148], v[2:3], v[147:148]
	s_delay_alu instid0(VALU_DEP_3) | instskip(SKIP_1) | instid1(VALU_DEP_2)
	v_add_f64_e32 v[0:1], v[0:1], v[163:164]
	v_fma_f64 v[2:3], v[186:187], s[0:1], -v[242:243]
	v_add_f64_e32 v[0:1], v[149:150], v[0:1]
	s_delay_alu instid0(VALU_DEP_2) | instskip(SKIP_1) | instid1(VALU_DEP_1)
	v_add_f64_e32 v[2:3], v[2:3], v[169:170]
	v_fma_f64 v[149:150], v[198:199], s[10:11], -v[246:247]
	v_add_f64_e32 v[2:3], v[149:150], v[2:3]
	v_fma_f64 v[149:150], v[204:205], s[26:27], v[248:249]
	s_delay_alu instid0(VALU_DEP_1) | instskip(SKIP_1) | instid1(VALU_DEP_1)
	v_add_f64_e32 v[0:1], v[149:150], v[0:1]
	v_fma_f64 v[149:150], v[210:211], s[26:27], -v[250:251]
	v_add_f64_e32 v[2:3], v[149:150], v[2:3]
	v_fma_f64 v[149:150], v[216:217], s[2:3], v[252:253]
	s_delay_alu instid0(VALU_DEP_2) | instskip(NEXT) | instid1(VALU_DEP_2)
	v_add_f64_e32 v[151:152], v[151:152], v[2:3]
	v_add_f64_e32 v[149:150], v[149:150], v[0:1]
	v_fma_f64 v[0:1], v[175:176], s[2:3], v[226:227]
	v_fma_f64 v[2:3], v[186:187], s[2:3], -v[228:229]
	s_delay_alu instid0(VALU_DEP_2) | instskip(NEXT) | instid1(VALU_DEP_2)
	v_add_f64_e32 v[0:1], v[0:1], v[155:156]
	v_add_f64_e32 v[2:3], v[2:3], v[157:158]
	v_fma_f64 v[155:156], v[222:223], s[26:27], -v[238:239]
	v_fma_f64 v[157:158], v[192:193], s[12:13], -v[194:195]
	s_delay_alu instid0(VALU_DEP_4) | instskip(SKIP_1) | instid1(VALU_DEP_1)
	v_add_f64_e32 v[0:1], v[153:154], v[0:1]
	v_fma_f64 v[153:154], v[198:199], s[0:1], -v[230:231]
	v_add_f64_e32 v[2:3], v[153:154], v[2:3]
	v_fma_f64 v[153:154], v[204:205], s[12:13], v[232:233]
	s_delay_alu instid0(VALU_DEP_1) | instskip(SKIP_1) | instid1(VALU_DEP_1)
	v_add_f64_e32 v[0:1], v[153:154], v[0:1]
	v_fma_f64 v[153:154], v[210:211], s[12:13], -v[234:235]
	v_add_f64_e32 v[2:3], v[153:154], v[2:3]
	v_fma_f64 v[153:154], v[216:217], s[26:27], v[236:237]
	s_delay_alu instid0(VALU_DEP_2) | instskip(NEXT) | instid1(VALU_DEP_2)
	v_add_f64_e32 v[155:156], v[155:156], v[2:3]
	v_add_f64_e32 v[153:154], v[153:154], v[0:1]
	v_fma_f64 v[0:1], v[175:176], s[10:11], -v[177:178]
	v_fma_f64 v[2:3], v[186:187], s[10:11], v[188:189]
	s_delay_alu instid0(VALU_DEP_2) | instskip(NEXT) | instid1(VALU_DEP_2)
	v_add_f64_e32 v[0:1], v[0:1], v[116:117]
	v_add_f64_e32 v[2:3], v[2:3], v[118:119]
	v_fma_f64 v[116:117], v[204:205], s[2:3], -v[206:207]
	v_fma_f64 v[118:119], v[210:211], s[2:3], v[212:213]
	s_delay_alu instid0(VALU_DEP_4) | instskip(NEXT) | instid1(VALU_DEP_4)
	v_add_f64_e32 v[0:1], v[157:158], v[0:1]
	v_add_f64_e32 v[2:3], v[159:160], v[2:3]
	v_fma_f64 v[157:158], v[216:217], s[0:1], -v[218:219]
	v_fma_f64 v[159:160], v[222:223], s[0:1], v[224:225]
	s_delay_alu instid0(VALU_DEP_4) | instskip(NEXT) | instid1(VALU_DEP_4)
	v_add_f64_e32 v[0:1], v[116:117], v[0:1]
	v_add_f64_e32 v[2:3], v[118:119], v[2:3]
	s_delay_alu instid0(VALU_DEP_2) | instskip(NEXT) | instid1(VALU_DEP_2)
	v_add_f64_e32 v[116:117], v[157:158], v[0:1]
	v_add_f64_e32 v[118:119], v[159:160], v[2:3]
	;; [unrolled: 1-line block ×4, first 2 shown]
	s_delay_alu instid0(VALU_DEP_2) | instskip(NEXT) | instid1(VALU_DEP_2)
	v_add_f64_e32 v[0:1], v[0:1], v[92:93]
	v_add_f64_e32 v[2:3], v[2:3], v[94:95]
	s_delay_alu instid0(VALU_DEP_2) | instskip(NEXT) | instid1(VALU_DEP_2)
	v_add_f64_e32 v[0:1], v[0:1], v[96:97]
	v_add_f64_e32 v[2:3], v[2:3], v[98:99]
	;; [unrolled: 3-line block ×8, first 2 shown]
	v_lshrrev_b32_e32 v0, 2, v5
	s_delay_alu instid0(VALU_DEP_1) | instskip(NEXT) | instid1(VALU_DEP_1)
	v_mul_u32_u24_e32 v0, 44, v0
	v_or_b32_e32 v0, v0, v120
	s_delay_alu instid0(VALU_DEP_1)
	v_lshlrev_b32_e32 v186, 4, v0
	v_mad_co_u64_u32 v[0:1], null, 0xa0, v5, s[24:25]
	ds_store_b128 v186, v[125:128] offset:128
	ds_store_b128 v186, v[129:132] offset:192
	;; [unrolled: 1-line block ×10, first 2 shown]
	ds_store_b128 v186, v[78:81]
	global_wb scope:SCOPE_SE
	s_wait_dscnt 0x0
	s_barrier_signal -1
	s_barrier_wait -1
	global_inv scope:SCOPE_SE
	s_clause 0x1
	global_load_b128 v[76:79], v[0:1], off offset:640
	global_load_b128 v[80:83], v[0:1], off offset:656
	ds_load_b128 v[84:87], v181 offset:704
	ds_load_b128 v[177:180], v181
	s_wait_loadcnt_dscnt 0x101
	v_mul_f64_e32 v[2:3], v[86:87], v[78:79]
	s_delay_alu instid0(VALU_DEP_1) | instskip(SKIP_1) | instid1(VALU_DEP_1)
	v_fma_f64 v[2:3], v[84:85], v[76:77], -v[2:3]
	v_mul_f64_e32 v[84:85], v[84:85], v[78:79]
	v_fma_f64 v[160:161], v[86:87], v[76:77], v[84:85]
	s_clause 0x1
	global_load_b128 v[88:91], v[0:1], off offset:784
	global_load_b128 v[84:87], v[0:1], off offset:768
	ds_load_b128 v[92:95], v181 offset:7040
	s_wait_loadcnt_dscnt 0x100
	v_mul_f64_e32 v[96:97], v[92:93], v[90:91]
	s_delay_alu instid0(VALU_DEP_1) | instskip(SKIP_1) | instid1(VALU_DEP_2)
	v_fma_f64 v[124:125], v[94:95], v[88:89], v[96:97]
	v_mul_f64_e32 v[94:95], v[94:95], v[90:91]
	v_add_f64_e32 v[173:174], v[160:161], v[124:125]
	s_delay_alu instid0(VALU_DEP_2)
	v_fma_f64 v[126:127], v[92:93], v[88:89], -v[94:95]
	ds_load_b128 v[92:95], v181 offset:1408
	ds_load_b128 v[100:103], v181 offset:2112
	s_wait_dscnt 0x1
	v_mul_f64_e32 v[96:97], v[92:93], v[82:83]
	v_add_f64_e32 v[162:163], v[2:3], v[126:127]
	s_delay_alu instid0(VALU_DEP_2) | instskip(SKIP_1) | instid1(VALU_DEP_1)
	v_fma_f64 v[132:133], v[94:95], v[80:81], v[96:97]
	v_mul_f64_e32 v[94:95], v[94:95], v[82:83]
	v_fma_f64 v[134:135], v[92:93], v[80:81], -v[94:95]
	ds_load_b128 v[92:95], v181 offset:6336
	ds_load_b128 v[116:119], v181 offset:5632
	s_wait_loadcnt_dscnt 0x1
	v_mul_f64_e32 v[96:97], v[92:93], v[86:87]
	s_delay_alu instid0(VALU_DEP_1) | instskip(SKIP_1) | instid1(VALU_DEP_2)
	v_fma_f64 v[128:129], v[94:95], v[84:85], v[96:97]
	v_mul_f64_e32 v[94:95], v[94:95], v[86:87]
	v_add_f64_e32 v[217:218], v[132:133], v[128:129]
	s_delay_alu instid0(VALU_DEP_2) | instskip(SKIP_4) | instid1(VALU_DEP_1)
	v_fma_f64 v[130:131], v[92:93], v[84:85], -v[94:95]
	s_clause 0x1
	global_load_b128 v[96:99], v[0:1], off offset:672
	global_load_b128 v[92:95], v[0:1], off offset:688
	v_add_f64_e64 v[215:216], v[134:135], -v[130:131]
	v_mul_f64_e32 v[219:220], s[18:19], v[215:216]
	v_mul_f64_e32 v[4:5], s[38:39], v[215:216]
	s_delay_alu instid0(VALU_DEP_1) | instskip(SKIP_3) | instid1(VALU_DEP_1)
	v_fma_f64 v[6:7], v[217:218], s[0:1], v[4:5]
	v_fma_f64 v[4:5], v[217:218], s[0:1], -v[4:5]
	s_wait_loadcnt 0x1
	v_mul_f64_e32 v[104:105], v[102:103], v[98:99]
	v_fma_f64 v[136:137], v[100:101], v[96:97], -v[104:105]
	v_mul_f64_e32 v[100:101], v[100:101], v[98:99]
	s_delay_alu instid0(VALU_DEP_1) | instskip(SKIP_4) | instid1(VALU_DEP_1)
	v_fma_f64 v[138:139], v[102:103], v[96:97], v[100:101]
	ds_load_b128 v[100:103], v181 offset:2816
	ds_load_b128 v[108:111], v181 offset:3520
	s_wait_loadcnt_dscnt 0x1
	v_mul_f64_e32 v[104:105], v[102:103], v[94:95]
	v_fma_f64 v[140:141], v[100:101], v[92:93], -v[104:105]
	v_mul_f64_e32 v[100:101], v[100:101], v[94:95]
	s_delay_alu instid0(VALU_DEP_1)
	v_fma_f64 v[142:143], v[102:103], v[92:93], v[100:101]
	s_clause 0x1
	global_load_b128 v[104:107], v[0:1], off offset:704
	global_load_b128 v[100:103], v[0:1], off offset:720
	s_wait_loadcnt_dscnt 0x100
	v_mul_f64_e32 v[112:113], v[110:111], v[106:107]
	s_delay_alu instid0(VALU_DEP_1) | instskip(SKIP_1) | instid1(VALU_DEP_1)
	v_fma_f64 v[144:145], v[108:109], v[104:105], -v[112:113]
	v_mul_f64_e32 v[108:109], v[108:109], v[106:107]
	v_fma_f64 v[146:147], v[110:111], v[104:105], v[108:109]
	ds_load_b128 v[108:111], v181 offset:4224
	ds_load_b128 v[120:123], v181 offset:4928
	s_wait_loadcnt_dscnt 0x1
	v_mul_f64_e32 v[112:113], v[110:111], v[102:103]
	s_delay_alu instid0(VALU_DEP_1) | instskip(SKIP_1) | instid1(VALU_DEP_2)
	v_fma_f64 v[148:149], v[108:109], v[100:101], -v[112:113]
	v_mul_f64_e32 v[108:109], v[108:109], v[102:103]
	v_add_f64_e32 v[247:248], v[144:145], v[148:149]
	s_delay_alu instid0(VALU_DEP_2)
	v_fma_f64 v[150:151], v[110:111], v[100:101], v[108:109]
	s_clause 0x1
	global_load_b128 v[108:111], v[0:1], off offset:736
	global_load_b128 v[112:115], v[0:1], off offset:752
	v_add_f64_e64 v[245:246], v[146:147], -v[150:151]
	v_add_f64_e32 v[251:252], v[146:147], v[150:151]
	s_delay_alu instid0(VALU_DEP_2) | instskip(SKIP_3) | instid1(VALU_DEP_3)
	v_mul_f64_e32 v[249:250], s[30:31], v[245:246]
	v_mul_f64_e32 v[16:17], s[18:19], v[245:246]
	;; [unrolled: 1-line block ×4, first 2 shown]
	v_fma_f64 v[18:19], v[247:248], s[2:3], -v[16:17]
	s_delay_alu instid0(VALU_DEP_3) | instskip(NEXT) | instid1(VALU_DEP_3)
	v_fma_f64 v[26:27], v[247:248], s[10:11], -v[24:25]
	v_fma_f64 v[34:35], v[247:248], s[12:13], -v[32:33]
	s_wait_loadcnt_dscnt 0x100
	v_mul_f64_e32 v[0:1], v[122:123], v[110:111]
	s_delay_alu instid0(VALU_DEP_1) | instskip(SKIP_1) | instid1(VALU_DEP_2)
	v_fma_f64 v[152:153], v[120:121], v[108:109], -v[0:1]
	v_mul_f64_e32 v[0:1], v[120:121], v[110:111]
	v_add_f64_e32 v[235:236], v[140:141], v[152:153]
	s_delay_alu instid0(VALU_DEP_2) | instskip(SKIP_3) | instid1(VALU_DEP_3)
	v_fma_f64 v[154:155], v[122:123], v[108:109], v[0:1]
	s_wait_loadcnt 0x0
	v_mul_f64_e32 v[0:1], v[118:119], v[114:115]
	v_add_f64_e64 v[239:240], v[140:141], -v[152:153]
	v_add_f64_e64 v[233:234], v[142:143], -v[154:155]
	s_delay_alu instid0(VALU_DEP_3)
	v_fma_f64 v[156:157], v[116:117], v[112:113], -v[0:1]
	v_mul_f64_e32 v[0:1], v[116:117], v[114:115]
	v_add_f64_e32 v[241:242], v[142:143], v[154:155]
	v_mul_f64_e32 v[243:244], s[36:37], v[239:240]
	v_mul_f64_e32 v[237:238], s[36:37], v[233:234]
	v_add_f64_e32 v[223:224], v[136:137], v[156:157]
	v_fma_f64 v[158:159], v[118:119], v[112:113], v[0:1]
	v_add_f64_e64 v[0:1], v[160:161], -v[124:125]
	v_add_f64_e64 v[227:228], v[136:137], -v[156:157]
	v_mul_f64_e32 v[12:13], s[28:29], v[233:234]
	v_mul_f64_e32 v[20:21], s[14:15], v[233:234]
	v_add_f64_e64 v[221:222], v[138:139], -v[158:159]
	v_mul_f64_e32 v[120:121], s[20:21], v[0:1]
	v_mul_f64_e32 v[116:117], s[28:29], v[0:1]
	;; [unrolled: 1-line block ×5, first 2 shown]
	v_add_f64_e32 v[229:230], v[138:139], v[158:159]
	v_mul_f64_e32 v[231:232], s[38:39], v[227:228]
	v_fma_f64 v[14:15], v[235:236], s[26:27], -v[12:13]
	v_fma_f64 v[22:23], v[235:236], s[0:1], -v[20:21]
	v_mul_f64_e32 v[40:41], s[18:19], v[227:228]
	v_fma_f64 v[20:21], v[235:236], s[0:1], v[20:21]
	v_mul_f64_e32 v[225:226], s[38:39], v[221:222]
	v_fma_f64 v[182:183], v[162:163], s[12:13], -v[120:121]
	v_fma_f64 v[184:185], v[162:163], s[12:13], v[120:121]
	v_add_f64_e64 v[120:121], v[2:3], -v[126:127]
	v_fma_f64 v[164:165], v[162:163], s[26:27], -v[116:117]
	v_fma_f64 v[116:117], v[162:163], s[26:27], v[116:117]
	v_fma_f64 v[187:188], v[162:163], s[2:3], -v[122:123]
	v_fma_f64 v[189:190], v[162:163], s[2:3], v[122:123]
	;; [unrolled: 2-line block ×4, first 2 shown]
	v_mul_f64_e32 v[8:9], s[34:35], v[221:222]
	v_mul_f64_e32 v[30:31], s[18:19], v[221:222]
	v_fma_f64 v[42:43], v[229:230], s[2:3], v[40:41]
	v_add_f64_e32 v[182:183], v[177:178], v[182:183]
	v_mul_f64_e32 v[122:123], s[28:29], v[120:121]
	v_mul_f64_e32 v[166:167], s[20:21], v[120:121]
	v_mul_f64_e32 v[168:169], s[18:19], v[120:121]
	v_mul_f64_e32 v[162:163], s[22:23], v[120:121]
	v_mul_f64_e32 v[120:121], s[14:15], v[120:121]
	v_add_f64_e32 v[175:176], v[177:178], v[164:165]
	v_add_f64_e32 v[211:212], v[177:178], v[189:190]
	v_fma_f64 v[10:11], v[223:224], s[10:11], -v[8:9]
	v_fma_f64 v[193:194], v[173:174], s[26:27], v[122:123]
	v_fma_f64 v[122:123], v[173:174], s[26:27], -v[122:123]
	v_fma_f64 v[199:200], v[173:174], s[12:13], v[166:167]
	;; [unrolled: 2-line block ×3, first 2 shown]
	v_fma_f64 v[205:206], v[173:174], s[2:3], -v[168:169]
	v_add_f64_e32 v[167:168], v[177:178], v[2:3]
	v_add_f64_e32 v[2:3], v[177:178], v[116:117]
	v_fma_f64 v[195:196], v[173:174], s[10:11], v[162:163]
	v_fma_f64 v[197:198], v[173:174], s[10:11], -v[162:163]
	v_fma_f64 v[207:208], v[173:174], s[0:1], v[120:121]
	v_fma_f64 v[209:210], v[173:174], s[0:1], -v[120:121]
	v_add_f64_e32 v[116:117], v[177:178], v[0:1]
	v_add_f64_e32 v[169:170], v[179:180], v[160:161]
	v_mul_f64_e32 v[0:1], s[34:35], v[239:240]
	v_add_f64_e32 v[173:174], v[179:180], v[193:194]
	v_add_f64_e32 v[165:166], v[179:180], v[122:123]
	;; [unrolled: 1-line block ×7, first 2 shown]
	scratch_store_b64 off, v[2:3], off offset:188 ; 8-byte Folded Spill
	v_add_f64_e32 v[2:3], v[177:178], v[171:172]
	v_add_f64_e64 v[177:178], v[132:133], -v[128:129]
	v_add_f64_e32 v[160:161], v[179:180], v[195:196]
	v_add_f64_e32 v[162:163], v[179:180], v[197:198]
	;; [unrolled: 1-line block ×8, first 2 shown]
	v_mul_f64_e32 v[207:208], s[28:29], v[221:222]
	v_mul_f64_e32 v[209:210], s[28:29], v[227:228]
	v_add_f64_e32 v[6:7], v[6:7], v[193:194]
	v_mul_f64_e32 v[179:180], s[18:19], v[177:178]
	v_add_f64_e32 v[4:5], v[4:5], v[120:121]
	s_delay_alu instid0(VALU_DEP_2) | instskip(NEXT) | instid1(VALU_DEP_1)
	v_fma_f64 v[187:188], v[171:172], s[2:3], -v[179:180]
	v_add_f64_e32 v[2:3], v[187:188], v[2:3]
	v_fma_f64 v[187:188], v[217:218], s[2:3], v[219:220]
	s_delay_alu instid0(VALU_DEP_1) | instskip(SKIP_1) | instid1(VALU_DEP_1)
	v_add_f64_e32 v[160:161], v[187:188], v[160:161]
	v_fma_f64 v[187:188], v[223:224], s[0:1], -v[225:226]
	v_add_f64_e32 v[2:3], v[187:188], v[2:3]
	v_fma_f64 v[187:188], v[229:230], s[0:1], v[231:232]
	s_delay_alu instid0(VALU_DEP_1) | instskip(SKIP_1) | instid1(VALU_DEP_1)
	v_add_f64_e32 v[160:161], v[187:188], v[160:161]
	;; [unrolled: 5-line block ×3, first 2 shown]
	v_fma_f64 v[187:188], v[247:248], s[26:27], -v[249:250]
	v_add_f64_e32 v[187:188], v[187:188], v[2:3]
	v_add_f64_e64 v[2:3], v[144:145], -v[148:149]
	s_delay_alu instid0(VALU_DEP_1) | instskip(NEXT) | instid1(VALU_DEP_1)
	v_mul_f64_e32 v[253:254], s[30:31], v[2:3]
	v_fma_f64 v[189:190], v[251:252], s[26:27], v[253:254]
	s_delay_alu instid0(VALU_DEP_1) | instskip(SKIP_1) | instid1(VALU_DEP_1)
	v_add_f64_e32 v[189:190], v[189:190], v[160:161]
	v_mul_f64_e32 v[160:161], s[38:39], v[177:178]
	v_fma_f64 v[191:192], v[171:172], s[0:1], -v[160:161]
	s_delay_alu instid0(VALU_DEP_1) | instskip(NEXT) | instid1(VALU_DEP_1)
	v_add_f64_e32 v[182:183], v[191:192], v[182:183]
	v_add_f64_e32 v[10:11], v[10:11], v[182:183]
	v_mul_f64_e32 v[182:183], s[34:35], v[227:228]
	s_delay_alu instid0(VALU_DEP_2) | instskip(NEXT) | instid1(VALU_DEP_2)
	v_add_f64_e32 v[10:11], v[14:15], v[10:11]
	v_fma_f64 v[191:192], v[229:230], s[10:11], v[182:183]
	v_mul_f64_e32 v[14:15], s[28:29], v[239:240]
	s_delay_alu instid0(VALU_DEP_2) | instskip(NEXT) | instid1(VALU_DEP_2)
	v_add_f64_e32 v[6:7], v[191:192], v[6:7]
	v_fma_f64 v[191:192], v[241:242], s[26:27], v[14:15]
	s_delay_alu instid0(VALU_DEP_1) | instskip(SKIP_2) | instid1(VALU_DEP_1)
	v_add_f64_e32 v[6:7], v[191:192], v[6:7]
	v_add_f64_e32 v[191:192], v[18:19], v[10:11]
	v_mul_f64_e32 v[10:11], s[18:19], v[2:3]
	v_fma_f64 v[18:19], v[251:252], s[2:3], v[10:11]
	s_delay_alu instid0(VALU_DEP_1) | instskip(SKIP_1) | instid1(VALU_DEP_1)
	v_add_f64_e32 v[193:194], v[18:19], v[6:7]
	v_mul_f64_e32 v[6:7], s[36:37], v[177:178]
	v_fma_f64 v[18:19], v[171:172], s[12:13], -v[6:7]
	s_delay_alu instid0(VALU_DEP_1) | instskip(SKIP_1) | instid1(VALU_DEP_1)
	v_add_f64_e32 v[18:19], v[18:19], v[184:185]
	v_mul_f64_e32 v[184:185], s[36:37], v[215:216]
	v_fma_f64 v[197:198], v[217:218], s[12:13], v[184:185]
	s_delay_alu instid0(VALU_DEP_1) | instskip(SKIP_1) | instid1(VALU_DEP_1)
	v_add_f64_e32 v[195:196], v[197:198], v[195:196]
	v_fma_f64 v[197:198], v[223:224], s[26:27], -v[207:208]
	v_add_f64_e32 v[18:19], v[197:198], v[18:19]
	v_fma_f64 v[197:198], v[229:230], s[26:27], v[209:210]
	s_delay_alu instid0(VALU_DEP_2) | instskip(SKIP_1) | instid1(VALU_DEP_3)
	v_add_f64_e32 v[18:19], v[22:23], v[18:19]
	v_mul_f64_e32 v[22:23], s[14:15], v[239:240]
	v_add_f64_e32 v[195:196], v[197:198], v[195:196]
	s_delay_alu instid0(VALU_DEP_2) | instskip(NEXT) | instid1(VALU_DEP_1)
	v_fma_f64 v[197:198], v[241:242], s[0:1], v[22:23]
	v_add_f64_e32 v[197:198], v[197:198], v[195:196]
	v_add_f64_e32 v[195:196], v[26:27], v[18:19]
	v_mul_f64_e32 v[18:19], s[34:35], v[2:3]
	s_delay_alu instid0(VALU_DEP_1) | instskip(SKIP_1) | instid1(VALU_DEP_2)
	v_fma_f64 v[26:27], v[251:252], s[10:11], v[18:19]
	v_fma_f64 v[18:19], v[251:252], s[10:11], -v[18:19]
	v_add_f64_e32 v[197:198], v[26:27], v[197:198]
	v_mul_f64_e32 v[26:27], s[30:31], v[177:178]
	s_delay_alu instid0(VALU_DEP_1) | instskip(SKIP_1) | instid1(VALU_DEP_2)
	v_fma_f64 v[205:206], v[171:172], s[26:27], -v[26:27]
	v_fma_f64 v[26:27], v[171:172], s[26:27], v[26:27]
	v_add_f64_e32 v[199:200], v[205:206], v[199:200]
	v_mul_f64_e32 v[205:206], s[30:31], v[215:216]
	s_delay_alu instid0(VALU_DEP_3) | instskip(NEXT) | instid1(VALU_DEP_2)
	v_add_f64_e32 v[26:27], v[26:27], v[116:117]
	v_fma_f64 v[28:29], v[217:218], s[26:27], v[205:206]
	s_delay_alu instid0(VALU_DEP_1) | instskip(SKIP_2) | instid1(VALU_DEP_3)
	v_add_f64_e32 v[28:29], v[28:29], v[201:202]
	v_fma_f64 v[201:202], v[223:224], s[2:3], -v[30:31]
	v_fma_f64 v[30:31], v[223:224], s[2:3], v[30:31]
	v_add_f64_e32 v[28:29], v[42:43], v[28:29]
	v_mul_f64_e32 v[42:43], s[34:35], v[233:234]
	s_delay_alu instid0(VALU_DEP_4) | instskip(NEXT) | instid1(VALU_DEP_4)
	v_add_f64_e32 v[199:200], v[201:202], v[199:200]
	v_add_f64_e32 v[26:27], v[30:31], v[26:27]
	v_fma_f64 v[30:31], v[229:230], s[2:3], -v[40:41]
	s_delay_alu instid0(VALU_DEP_4) | instskip(NEXT) | instid1(VALU_DEP_1)
	v_fma_f64 v[201:202], v[235:236], s[10:11], -v[42:43]
	v_add_f64_e32 v[199:200], v[201:202], v[199:200]
	v_fma_f64 v[201:202], v[241:242], s[10:11], v[0:1]
	v_fma_f64 v[0:1], v[241:242], s[10:11], -v[0:1]
	s_delay_alu instid0(VALU_DEP_3) | instskip(SKIP_1) | instid1(VALU_DEP_4)
	v_add_f64_e32 v[199:200], v[34:35], v[199:200]
	v_mul_f64_e32 v[34:35], s[20:21], v[2:3]
	v_add_f64_e32 v[28:29], v[201:202], v[28:29]
	v_mul_f64_e32 v[2:3], s[14:15], v[2:3]
	s_delay_alu instid0(VALU_DEP_3) | instskip(NEXT) | instid1(VALU_DEP_1)
	v_fma_f64 v[201:202], v[251:252], s[12:13], v[34:35]
	v_add_f64_e32 v[201:202], v[201:202], v[28:29]
	v_fma_f64 v[28:29], v[217:218], s[26:27], -v[205:206]
	s_delay_alu instid0(VALU_DEP_1) | instskip(NEXT) | instid1(VALU_DEP_1)
	v_add_f64_e32 v[28:29], v[28:29], v[203:204]
	v_add_f64_e32 v[28:29], v[30:31], v[28:29]
	v_fma_f64 v[30:31], v[235:236], s[10:11], v[42:43]
	s_delay_alu instid0(VALU_DEP_2) | instskip(NEXT) | instid1(VALU_DEP_2)
	v_add_f64_e32 v[0:1], v[0:1], v[28:29]
	v_add_f64_e32 v[26:27], v[30:31], v[26:27]
	v_fma_f64 v[30:31], v[251:252], s[12:13], -v[34:35]
	v_fma_f64 v[28:29], v[247:248], s[12:13], v[32:33]
	s_delay_alu instid0(VALU_DEP_2) | instskip(SKIP_1) | instid1(VALU_DEP_3)
	v_add_f64_e32 v[205:206], v[30:31], v[0:1]
	v_fma_f64 v[0:1], v[171:172], s[12:13], v[6:7]
	v_add_f64_e32 v[203:204], v[28:29], v[26:27]
	v_fma_f64 v[6:7], v[217:218], s[12:13], -v[184:185]
	v_fma_f64 v[26:27], v[223:224], s[26:27], v[207:208]
	s_delay_alu instid0(VALU_DEP_4) | instskip(NEXT) | instid1(VALU_DEP_3)
	v_add_f64_e32 v[0:1], v[0:1], v[211:212]
	v_add_f64_e32 v[6:7], v[6:7], v[213:214]
	s_delay_alu instid0(VALU_DEP_2) | instskip(SKIP_1) | instid1(VALU_DEP_2)
	v_add_f64_e32 v[0:1], v[26:27], v[0:1]
	v_fma_f64 v[26:27], v[229:230], s[26:27], -v[209:210]
	v_add_f64_e32 v[0:1], v[20:21], v[0:1]
	s_delay_alu instid0(VALU_DEP_2) | instskip(SKIP_1) | instid1(VALU_DEP_1)
	v_add_f64_e32 v[6:7], v[26:27], v[6:7]
	v_fma_f64 v[20:21], v[241:242], s[0:1], -v[22:23]
	v_add_f64_e32 v[6:7], v[20:21], v[6:7]
	v_fma_f64 v[20:21], v[247:248], s[10:11], v[24:25]
	s_delay_alu instid0(VALU_DEP_2) | instskip(NEXT) | instid1(VALU_DEP_2)
	v_add_f64_e32 v[209:210], v[18:19], v[6:7]
	v_add_f64_e32 v[207:208], v[20:21], v[0:1]
	v_fma_f64 v[0:1], v[171:172], s[0:1], v[160:161]
	v_fma_f64 v[6:7], v[223:224], s[10:11], v[8:9]
	v_fma_f64 v[8:9], v[251:252], s[2:3], -v[10:11]
	v_mul_f64_e32 v[10:11], s[20:21], v[221:222]
	s_delay_alu instid0(VALU_DEP_4) | instskip(NEXT) | instid1(VALU_DEP_1)
	v_add_f64_e32 v[0:1], v[0:1], v[118:119]
	v_add_f64_e32 v[0:1], v[6:7], v[0:1]
	v_fma_f64 v[6:7], v[229:230], s[10:11], -v[182:183]
	s_delay_alu instid0(VALU_DEP_1) | instskip(SKIP_2) | instid1(VALU_DEP_2)
	v_add_f64_e32 v[4:5], v[6:7], v[4:5]
	v_fma_f64 v[6:7], v[235:236], s[26:27], v[12:13]
	v_fma_f64 v[12:13], v[223:224], s[12:13], -v[10:11]
	v_add_f64_e32 v[0:1], v[6:7], v[0:1]
	v_fma_f64 v[6:7], v[241:242], s[26:27], -v[14:15]
	s_delay_alu instid0(VALU_DEP_1) | instskip(SKIP_1) | instid1(VALU_DEP_2)
	v_add_f64_e32 v[4:5], v[6:7], v[4:5]
	v_fma_f64 v[6:7], v[247:248], s[2:3], v[16:17]
	v_add_f64_e32 v[118:119], v[8:9], v[4:5]
	s_delay_alu instid0(VALU_DEP_2) | instskip(SKIP_4) | instid1(VALU_DEP_4)
	v_add_f64_e32 v[116:117], v[6:7], v[0:1]
	v_fma_f64 v[0:1], v[171:172], s[2:3], v[179:180]
	v_fma_f64 v[4:5], v[217:218], s[2:3], -v[219:220]
	v_fma_f64 v[6:7], v[223:224], s[0:1], v[225:226]
	v_fma_f64 v[8:9], v[251:252], s[26:27], -v[253:254]
	v_add_f64_e32 v[0:1], v[0:1], v[122:123]
	s_delay_alu instid0(VALU_DEP_4) | instskip(NEXT) | instid1(VALU_DEP_2)
	v_add_f64_e32 v[4:5], v[4:5], v[162:163]
	v_add_f64_e32 v[0:1], v[6:7], v[0:1]
	v_fma_f64 v[6:7], v[229:230], s[0:1], -v[231:232]
	s_delay_alu instid0(VALU_DEP_1) | instskip(SKIP_1) | instid1(VALU_DEP_1)
	v_add_f64_e32 v[4:5], v[6:7], v[4:5]
	v_fma_f64 v[6:7], v[235:236], s[12:13], v[237:238]
	v_add_f64_e32 v[0:1], v[6:7], v[0:1]
	v_fma_f64 v[6:7], v[241:242], s[12:13], -v[243:244]
	s_delay_alu instid0(VALU_DEP_1) | instskip(SKIP_1) | instid1(VALU_DEP_2)
	v_add_f64_e32 v[4:5], v[6:7], v[4:5]
	v_fma_f64 v[6:7], v[247:248], s[26:27], v[249:250]
	v_add_f64_e32 v[122:123], v[8:9], v[4:5]
	s_delay_alu instid0(VALU_DEP_2) | instskip(SKIP_2) | instid1(VALU_DEP_2)
	v_add_f64_e32 v[120:121], v[6:7], v[0:1]
	v_mul_f64_e32 v[0:1], s[22:23], v[177:178]
	v_mul_f64_e32 v[6:7], s[22:23], v[215:216]
	v_fma_f64 v[4:5], v[171:172], s[10:11], -v[0:1]
	s_delay_alu instid0(VALU_DEP_2) | instskip(SKIP_1) | instid1(VALU_DEP_3)
	v_fma_f64 v[8:9], v[217:218], s[10:11], v[6:7]
	v_fma_f64 v[0:1], v[171:172], s[10:11], v[0:1]
	v_add_f64_e32 v[4:5], v[4:5], v[175:176]
	s_delay_alu instid0(VALU_DEP_3) | instskip(NEXT) | instid1(VALU_DEP_2)
	v_add_f64_e32 v[8:9], v[8:9], v[173:174]
	v_add_f64_e32 v[4:5], v[12:13], v[4:5]
	v_mul_f64_e32 v[12:13], s[20:21], v[227:228]
	s_delay_alu instid0(VALU_DEP_1) | instskip(NEXT) | instid1(VALU_DEP_1)
	v_fma_f64 v[14:15], v[229:230], s[12:13], v[12:13]
	v_add_f64_e32 v[8:9], v[14:15], v[8:9]
	v_mul_f64_e32 v[14:15], s[18:19], v[233:234]
	s_delay_alu instid0(VALU_DEP_1) | instskip(NEXT) | instid1(VALU_DEP_1)
	v_fma_f64 v[16:17], v[235:236], s[2:3], -v[14:15]
	v_add_f64_e32 v[4:5], v[16:17], v[4:5]
	v_mul_f64_e32 v[16:17], s[18:19], v[239:240]
	s_delay_alu instid0(VALU_DEP_1) | instskip(NEXT) | instid1(VALU_DEP_1)
	v_fma_f64 v[18:19], v[241:242], s[2:3], v[16:17]
	v_add_f64_e32 v[8:9], v[18:19], v[8:9]
	v_mul_f64_e32 v[18:19], s[14:15], v[245:246]
	s_delay_alu instid0(VALU_DEP_1) | instskip(NEXT) | instid1(VALU_DEP_1)
	v_fma_f64 v[20:21], v[247:248], s[0:1], -v[18:19]
	v_add_f64_e32 v[173:174], v[20:21], v[4:5]
	v_fma_f64 v[4:5], v[251:252], s[0:1], v[2:3]
	v_fma_f64 v[2:3], v[251:252], s[0:1], -v[2:3]
	s_delay_alu instid0(VALU_DEP_2) | instskip(SKIP_2) | instid1(VALU_DEP_2)
	v_add_f64_e32 v[175:176], v[4:5], v[8:9]
	v_add_f64_e32 v[4:5], v[167:168], v[134:135]
	;; [unrolled: 1-line block ×4, first 2 shown]
	s_delay_alu instid0(VALU_DEP_2) | instskip(NEXT) | instid1(VALU_DEP_2)
	v_add_f64_e32 v[8:9], v[8:9], v[138:139]
	v_add_f64_e32 v[4:5], v[4:5], v[140:141]
	s_delay_alu instid0(VALU_DEP_2) | instskip(NEXT) | instid1(VALU_DEP_2)
	v_add_f64_e32 v[8:9], v[8:9], v[142:143]
	v_add_f64_e32 v[4:5], v[4:5], v[144:145]
	s_delay_alu instid0(VALU_DEP_2) | instskip(NEXT) | instid1(VALU_DEP_2)
	v_add_f64_e32 v[8:9], v[8:9], v[146:147]
	v_add_f64_e32 v[4:5], v[4:5], v[148:149]
	s_delay_alu instid0(VALU_DEP_2) | instskip(NEXT) | instid1(VALU_DEP_2)
	v_add_f64_e32 v[8:9], v[8:9], v[150:151]
	v_add_f64_e32 v[4:5], v[4:5], v[152:153]
	s_delay_alu instid0(VALU_DEP_2) | instskip(NEXT) | instid1(VALU_DEP_2)
	v_add_f64_e32 v[8:9], v[8:9], v[154:155]
	v_add_f64_e32 v[4:5], v[4:5], v[156:157]
	s_delay_alu instid0(VALU_DEP_2) | instskip(NEXT) | instid1(VALU_DEP_2)
	v_add_f64_e32 v[8:9], v[8:9], v[158:159]
	v_add_f64_e32 v[4:5], v[4:5], v[130:131]
	s_delay_alu instid0(VALU_DEP_2) | instskip(NEXT) | instid1(VALU_DEP_2)
	v_add_f64_e32 v[8:9], v[8:9], v[128:129]
	v_add_f64_e32 v[128:129], v[4:5], v[126:127]
	v_fma_f64 v[4:5], v[217:218], s[10:11], -v[6:7]
	v_fma_f64 v[6:7], v[223:224], s[12:13], v[10:11]
	scratch_load_b64 v[10:11], off, off offset:188 th:TH_LOAD_LU ; 8-byte Folded Reload
	v_add_f64_e32 v[130:131], v[8:9], v[124:125]
	v_fma_f64 v[8:9], v[229:230], s[12:13], -v[12:13]
	v_fma_f64 v[12:13], v[241:242], s[2:3], -v[16:17]
	v_add_f64_e32 v[4:5], v[4:5], v[165:166]
	s_delay_alu instid0(VALU_DEP_1) | instskip(NEXT) | instid1(VALU_DEP_1)
	v_add_f64_e32 v[4:5], v[8:9], v[4:5]
	v_add_f64_e32 v[4:5], v[12:13], v[4:5]
	s_delay_alu instid0(VALU_DEP_1) | instskip(SKIP_3) | instid1(VALU_DEP_2)
	v_add_f64_e32 v[126:127], v[2:3], v[4:5]
	s_wait_loadcnt 0x0
	v_add_f64_e32 v[0:1], v[0:1], v[10:11]
	v_fma_f64 v[10:11], v[235:236], s[2:3], v[14:15]
	v_add_f64_e32 v[0:1], v[6:7], v[0:1]
	v_fma_f64 v[6:7], v[247:248], s[0:1], v[18:19]
	s_add_nc_u64 s[0:1], s[16:17], 0x1e40
	s_delay_alu instid0(VALU_DEP_2) | instskip(NEXT) | instid1(VALU_DEP_1)
	v_add_f64_e32 v[0:1], v[10:11], v[0:1]
	v_add_f64_e32 v[124:125], v[6:7], v[0:1]
	ds_store_b128 v181, v[187:190] offset:1408
	ds_store_b128 v181, v[191:194] offset:2112
	;; [unrolled: 1-line block ×7, first 2 shown]
	ds_store_b128 v181, v[128:131]
	ds_store_b128 v181, v[116:119] offset:5632
	ds_store_b128 v181, v[120:123] offset:6336
	;; [unrolled: 1-line block ×3, first 2 shown]
	global_wb scope:SCOPE_SE
	s_wait_storecnt_dscnt 0x0
	s_barrier_signal -1
	s_barrier_wait -1
	global_inv scope:SCOPE_SE
	scratch_load_b64 v[217:218], off, off offset:24 ; 8-byte Folded Reload
	s_wait_loadcnt 0x0
	global_load_b128 v[128:131], v[217:218], off offset:7744
	ds_load_b128 v[132:135], v181
	ds_load_b128 v[136:139], v181 offset:704
	s_clause 0x3
	global_load_b128 v[140:143], v181, s[0:1] offset:1936
	global_load_b128 v[148:151], v181, s[0:1] offset:704
	;; [unrolled: 1-line block ×4, first 2 shown]
	ds_load_b128 v[144:147], v181 offset:1936
	ds_load_b128 v[152:155], v181 offset:2640
	;; [unrolled: 1-line block ×4, first 2 shown]
	s_wait_loadcnt_dscnt 0x405
	v_mul_f64_e32 v[0:1], v[134:135], v[130:131]
	v_mul_f64_e32 v[2:3], v[132:133], v[130:131]
	s_delay_alu instid0(VALU_DEP_2) | instskip(NEXT) | instid1(VALU_DEP_2)
	v_fma_f64 v[130:131], v[132:133], v[128:129], -v[0:1]
	v_fma_f64 v[132:133], v[134:135], v[128:129], v[2:3]
	s_wait_loadcnt_dscnt 0x303
	v_mul_f64_e32 v[0:1], v[146:147], v[142:143]
	v_mul_f64_e32 v[2:3], v[144:145], v[142:143]
	s_delay_alu instid0(VALU_DEP_2) | instskip(NEXT) | instid1(VALU_DEP_2)
	v_fma_f64 v[142:143], v[144:145], v[140:141], -v[0:1]
	v_fma_f64 v[144:145], v[146:147], v[140:141], v[2:3]
	;; [unrolled: 6-line block ×3, first 2 shown]
	s_clause 0x1
	global_load_b128 v[156:159], v181, s[0:1] offset:5808
	global_load_b128 v[175:178], v181, s[0:1] offset:4576
	ds_load_b128 v[187:190], v181 offset:5808
	ds_load_b128 v[191:194], v181 offset:6512
	s_wait_loadcnt_dscnt 0x101
	v_mul_f64_e32 v[0:1], v[189:190], v[158:159]
	v_mul_f64_e32 v[2:3], v[187:188], v[158:159]
	s_delay_alu instid0(VALU_DEP_2) | instskip(SKIP_1) | instid1(VALU_DEP_3)
	v_fma_f64 v[187:188], v[187:188], v[156:157], -v[0:1]
	v_mul_f64_e32 v[0:1], v[138:139], v[150:151]
	v_fma_f64 v[189:190], v[189:190], v[156:157], v[2:3]
	v_mul_f64_e32 v[2:3], v[136:137], v[150:151]
	s_delay_alu instid0(VALU_DEP_3) | instskip(SKIP_1) | instid1(VALU_DEP_3)
	v_fma_f64 v[134:135], v[136:137], v[148:149], -v[0:1]
	v_mul_f64_e32 v[0:1], v[154:155], v[169:170]
	v_fma_f64 v[136:137], v[138:139], v[148:149], v[2:3]
	v_mul_f64_e32 v[2:3], v[152:153], v[169:170]
	s_delay_alu instid0(VALU_DEP_3)
	v_fma_f64 v[138:139], v[152:153], v[167:168], -v[0:1]
	global_load_b128 v[150:153], v181, s[0:1] offset:6512
	v_fma_f64 v[140:141], v[154:155], v[167:168], v[2:3]
	s_wait_loadcnt 0x1
	v_mul_f64_e32 v[0:1], v[173:174], v[177:178]
	v_mul_f64_e32 v[2:3], v[171:172], v[177:178]
	s_delay_alu instid0(VALU_DEP_2) | instskip(NEXT) | instid1(VALU_DEP_2)
	v_fma_f64 v[146:147], v[171:172], v[175:176], -v[0:1]
	v_fma_f64 v[148:149], v[173:174], v[175:176], v[2:3]
	s_wait_loadcnt_dscnt 0x0
	v_mul_f64_e32 v[0:1], v[193:194], v[152:153]
	v_mul_f64_e32 v[2:3], v[191:192], v[152:153]
	s_delay_alu instid0(VALU_DEP_2) | instskip(NEXT) | instid1(VALU_DEP_2)
	v_fma_f64 v[152:153], v[191:192], v[150:151], -v[0:1]
	v_fma_f64 v[154:155], v[193:194], v[150:151], v[2:3]
	ds_store_b128 v181, v[130:133]
	ds_store_b128 v181, v[134:137] offset:704
	ds_store_b128 v181, v[142:145] offset:1936
	;; [unrolled: 1-line block ×7, first 2 shown]
	s_and_saveexec_b32 s2, vcc_lo
	s_cbranch_execz .LBB0_9
; %bb.8:
	s_wait_alu 0xfffe
	v_add_co_u32 v0, s0, s0, v181
	s_wait_alu 0xf1ff
	v_add_co_ci_u32_e64 v1, null, s1, 0, s0
	s_clause 0x3
	global_load_b128 v[128:131], v[0:1], off offset:1408
	global_load_b128 v[132:135], v[0:1], off offset:3344
	;; [unrolled: 1-line block ×4, first 2 shown]
	ds_load_b128 v[144:147], v181 offset:1408
	ds_load_b128 v[148:151], v181 offset:3344
	;; [unrolled: 1-line block ×4, first 2 shown]
	s_wait_loadcnt_dscnt 0x303
	v_mul_f64_e32 v[0:1], v[146:147], v[130:131]
	v_mul_f64_e32 v[2:3], v[144:145], v[130:131]
	s_wait_loadcnt_dscnt 0x202
	v_mul_f64_e32 v[4:5], v[150:151], v[134:135]
	v_mul_f64_e32 v[6:7], v[148:149], v[134:135]
	;; [unrolled: 3-line block ×4, first 2 shown]
	v_fma_f64 v[142:143], v[144:145], v[128:129], -v[0:1]
	v_fma_f64 v[144:145], v[146:147], v[128:129], v[2:3]
	v_fma_f64 v[128:129], v[148:149], v[132:133], -v[4:5]
	v_fma_f64 v[130:131], v[150:151], v[132:133], v[6:7]
	;; [unrolled: 2-line block ×4, first 2 shown]
	ds_store_b128 v181, v[142:145] offset:1408
	ds_store_b128 v181, v[128:131] offset:3344
	;; [unrolled: 1-line block ×4, first 2 shown]
.LBB0_9:
	s_wait_alu 0xfffe
	s_or_b32 exec_lo, exec_lo, s2
	global_wb scope:SCOPE_SE
	s_wait_dscnt 0x0
	s_barrier_signal -1
	s_barrier_wait -1
	global_inv scope:SCOPE_SE
	ds_load_b128 v[128:131], v181
	ds_load_b128 v[132:135], v181 offset:704
	ds_load_b128 v[140:143], v181 offset:1936
	;; [unrolled: 1-line block ×7, first 2 shown]
	scratch_load_b32 v0, off, off offset:184 th:TH_LOAD_LU ; 4-byte Folded Reload
	s_wait_loadcnt 0x0
	v_add_nc_u32_e32 v163, 0xb00, v0
	s_and_saveexec_b32 s0, vcc_lo
	s_cbranch_execz .LBB0_11
; %bb.10:
	ds_load_b128 v[116:119], v181 offset:1408
	ds_load_b128 v[120:123], v181 offset:3344
	;; [unrolled: 1-line block ×4, first 2 shown]
	s_wait_dscnt 0x0
	scratch_store_b128 off, v[0:3], off     ; 16-byte Folded Spill
.LBB0_11:
	s_wait_alu 0xfffe
	s_or_b32 exec_lo, exec_lo, s0
	s_wait_dscnt 0x3
	v_add_f64_e64 v[0:1], v[128:129], -v[156:157]
	s_wait_dscnt 0x1
	v_add_f64_e64 v[6:7], v[142:143], -v[154:155]
	;; [unrolled: 2-line block ×3, first 2 shown]
	global_wb scope:SCOPE_SE
	s_wait_storecnt 0x0
	s_barrier_signal -1
	s_barrier_wait -1
	global_inv scope:SCOPE_SE
	v_add_f64_e64 v[2:3], v[130:131], -v[158:159]
	v_add_f64_e64 v[4:5], v[140:141], -v[152:153]
	;; [unrolled: 1-line block ×5, first 2 shown]
	v_fma_f64 v[16:17], v[128:129], 2.0, -v[0:1]
	v_add_f64_e32 v[128:129], v[0:1], v[6:7]
	v_fma_f64 v[22:23], v[142:143], 2.0, -v[6:7]
	v_fma_f64 v[28:29], v[136:137], 2.0, -v[12:13]
	v_fma_f64 v[18:19], v[130:131], 2.0, -v[2:3]
	v_fma_f64 v[20:21], v[140:141], 2.0, -v[4:5]
	v_fma_f64 v[24:25], v[132:133], 2.0, -v[8:9]
	v_fma_f64 v[26:27], v[134:135], 2.0, -v[10:11]
	v_fma_f64 v[30:31], v[138:139], 2.0, -v[14:15]
	v_add_f64_e64 v[130:131], v[2:3], -v[4:5]
	v_add_f64_e32 v[132:133], v[8:9], v[14:15]
	v_add_f64_e64 v[134:135], v[10:11], -v[12:13]
	v_fma_f64 v[144:145], v[0:1], 2.0, -v[128:129]
	scratch_load_b32 v0, off, off offset:180 th:TH_LOAD_LU ; 4-byte Folded Reload
	v_add_f64_e64 v[138:139], v[18:19], -v[22:23]
	v_add_f64_e64 v[136:137], v[16:17], -v[20:21]
	;; [unrolled: 1-line block ×4, first 2 shown]
	v_fma_f64 v[146:147], v[2:3], 2.0, -v[130:131]
	v_fma_f64 v[148:149], v[8:9], 2.0, -v[132:133]
	;; [unrolled: 1-line block ×7, first 2 shown]
	s_wait_loadcnt 0x0
	ds_store_b128 v0, v[136:139] offset:32
	ds_store_b128 v0, v[128:131] offset:48
	ds_store_b128 v0, v[152:155]
	ds_store_b128 v0, v[144:147] offset:16
	ds_store_b128 v163, v[156:159]
	ds_store_b128 v163, v[148:151] offset:16
	ds_store_b128 v163, v[140:143] offset:32
	;; [unrolled: 1-line block ×3, first 2 shown]
	s_and_saveexec_b32 s0, vcc_lo
	s_cbranch_execz .LBB0_13
; %bb.12:
	scratch_load_b128 v[6:9], off, off th:TH_LOAD_LU ; 16-byte Folded Reload
	v_add_f64_e64 v[0:1], v[118:119], -v[126:127]
	v_add_f64_e64 v[4:5], v[116:117], -v[124:125]
	s_delay_alu instid0(VALU_DEP_1) | instskip(SKIP_4) | instid1(VALU_DEP_3)
	v_fma_f64 v[12:13], v[116:117], 2.0, -v[4:5]
	s_wait_loadcnt 0x0
	v_add_f64_e64 v[6:7], v[120:121], -v[6:7]
	v_add_f64_e64 v[2:3], v[122:123], -v[8:9]
	v_fma_f64 v[8:9], v[118:119], 2.0, -v[0:1]
	v_add_f64_e64 v[42:43], v[0:1], -v[6:7]
	s_delay_alu instid0(VALU_DEP_3) | instskip(SKIP_2) | instid1(VALU_DEP_4)
	v_fma_f64 v[10:11], v[122:123], 2.0, -v[2:3]
	v_fma_f64 v[14:15], v[120:121], 2.0, -v[6:7]
	v_add_f64_e32 v[40:41], v[4:5], v[2:3]
	v_fma_f64 v[122:123], v[0:1], 2.0, -v[42:43]
	scratch_load_b32 v0, off, off offset:176 th:TH_LOAD_LU ; 4-byte Folded Reload
	v_add_f64_e64 v[118:119], v[8:9], -v[10:11]
	v_add_f64_e64 v[116:117], v[12:13], -v[14:15]
	v_fma_f64 v[120:121], v[4:5], 2.0, -v[40:41]
	s_delay_alu instid0(VALU_DEP_3) | instskip(NEXT) | instid1(VALU_DEP_3)
	v_fma_f64 v[126:127], v[8:9], 2.0, -v[118:119]
	v_fma_f64 v[124:125], v[12:13], 2.0, -v[116:117]
	s_wait_loadcnt 0x0
	ds_store_b128 v0, v[124:127]
	ds_store_b128 v0, v[120:123] offset:16
	ds_store_b128 v0, v[116:119] offset:32
	;; [unrolled: 1-line block ×3, first 2 shown]
.LBB0_13:
	s_wait_alu 0xfffe
	s_or_b32 exec_lo, exec_lo, s0
	global_wb scope:SCOPE_SE
	s_wait_dscnt 0x0
	s_barrier_signal -1
	s_barrier_wait -1
	global_inv scope:SCOPE_SE
	ds_load_b128 v[40:43], v181 offset:704
	ds_load_b128 v[116:119], v181
	ds_load_b128 v[120:123], v181 offset:7040
	ds_load_b128 v[124:127], v181 offset:1408
	;; [unrolled: 1-line block ×4, first 2 shown]
	scratch_load_b128 v[32:35], off, off offset:160 th:TH_LOAD_LU ; 16-byte Folded Reload
	ds_load_b128 v[136:139], v181 offset:5632
	ds_load_b128 v[140:143], v181 offset:4928
	;; [unrolled: 1-line block ×5, first 2 shown]
	s_mov_b32 s0, 0xf8bb580b
	s_mov_b32 s2, 0x8764f0ba
	s_mov_b32 s12, 0x8eee2c13
	s_mov_b32 s14, 0xd9c712b6
	s_mov_b32 s1, 0xbfe14ced
	s_mov_b32 s3, 0x3feaeb8c
	s_mov_b32 s13, 0xbfed1bb4
	s_mov_b32 s15, 0x3fda9628
	s_mov_b32 s18, 0x43842ef
	s_mov_b32 s20, 0x640f44db
	s_mov_b32 s19, 0xbfefac9e
	s_mov_b32 s21, 0xbfc2375f
	s_wait_dscnt 0xa
	v_mul_f64_e32 v[0:1], v[38:39], v[42:43]
	v_mul_f64_e32 v[2:3], v[38:39], v[40:41]
	s_wait_dscnt 0x7
	v_mul_f64_e32 v[6:7], v[46:47], v[126:127]
	v_mul_f64_e32 v[8:9], v[46:47], v[124:125]
	s_wait_dscnt 0x6
	v_mul_f64_e32 v[10:11], v[50:51], v[128:129]
	s_wait_dscnt 0x5
	;; [unrolled: 2-line block ×3, first 2 shown]
	v_mul_f64_e32 v[14:15], v[66:67], v[136:137]
	v_mul_f64_e32 v[18:19], v[58:59], v[134:135]
	;; [unrolled: 1-line block ×4, first 2 shown]
	s_wait_dscnt 0x1
	v_mul_f64_e32 v[46:47], v[74:75], v[150:151]
	v_mul_f64_e32 v[22:23], v[54:55], v[146:147]
	;; [unrolled: 1-line block ×6, first 2 shown]
	s_mov_b32 s24, 0xbb3a28a1
	s_mov_b32 s26, 0x7f775887
	s_wait_dscnt 0x0
	v_mul_f64_e32 v[54:55], v[70:71], v[154:155]
	v_mul_f64_e32 v[58:59], v[70:71], v[152:153]
	s_mov_b32 s25, 0xbfe82f19
	s_mov_b32 s27, 0xbfe4f49e
	;; [unrolled: 1-line block ×8, first 2 shown]
	s_wait_alu 0xfffe
	s_mov_b32 s10, s0
	s_mov_b32 s16, s12
	s_mov_b32 s23, 0x3fefac9e
	s_mov_b32 s37, 0x3fd207e7
	s_mov_b32 s22, s18
	s_mov_b32 s36, s30
	s_mov_b32 s29, 0x3fe82f19
	s_mov_b32 s28, s24
	global_wb scope:SCOPE_SE
	s_wait_loadcnt 0x0
	s_barrier_signal -1
	v_fma_f64 v[0:1], v[36:37], v[40:41], v[0:1]
	v_fma_f64 v[2:3], v[36:37], v[42:43], -v[2:3]
	s_barrier_wait -1
	v_fma_f64 v[8:9], v[44:45], v[126:127], -v[8:9]
	v_fma_f64 v[36:37], v[48:49], v[130:131], -v[10:11]
	;; [unrolled: 1-line block ×4, first 2 shown]
	v_fma_f64 v[14:15], v[56:57], v[132:133], v[18:19]
	v_fma_f64 v[38:39], v[48:49], v[128:129], v[20:21]
	;; [unrolled: 1-line block ×4, first 2 shown]
	global_inv scope:SCOPE_SE
	v_fma_f64 v[18:19], v[52:53], v[146:147], -v[26:27]
	v_fma_f64 v[20:21], v[60:61], v[140:141], v[28:29]
	v_fma_f64 v[26:27], v[72:73], v[150:151], -v[50:51]
	v_fma_f64 v[28:29], v[68:69], v[152:153], v[54:55]
	v_add_f64_e32 v[10:11], v[118:119], v[2:3]
	v_add_f64_e64 v[46:47], v[8:9], -v[36:37]
	v_add_f64_e32 v[48:49], v[8:9], v[36:37]
	v_add_f64_e32 v[50:51], v[12:13], v[40:41]
	;; [unrolled: 1-line block ×3, first 2 shown]
	v_add_f64_e64 v[72:73], v[24:25], -v[28:29]
	v_add_f64_e32 v[8:9], v[10:11], v[8:9]
	v_add_f64_e64 v[10:11], v[12:13], -v[40:41]
	s_wait_alu 0xfffe
	v_mul_f64_e32 v[140:141], s[36:37], v[46:47]
	v_mul_f64_e32 v[136:137], s[14:15], v[48:49]
	;; [unrolled: 1-line block ×7, first 2 shown]
	v_add_f64_e32 v[8:9], v[8:9], v[12:13]
	v_mul_f64_e32 v[12:13], s[24:25], v[46:47]
	v_mul_f64_e32 v[148:149], s[18:19], v[10:11]
	;; [unrolled: 1-line block ×6, first 2 shown]
	v_add_f64_e32 v[8:9], v[8:9], v[18:19]
	v_fma_f64 v[211:212], v[56:57], s[34:35], v[152:153]
	v_fma_f64 v[152:153], v[56:57], s[34:35], -v[152:153]
	v_fma_f64 v[215:216], v[56:57], s[2:3], v[160:161]
	s_delay_alu instid0(VALU_DEP_4) | instskip(SKIP_2) | instid1(VALU_DEP_2)
	v_add_f64_e32 v[8:9], v[8:9], v[26:27]
	v_mul_f64_e32 v[4:5], v[34:35], v[120:121]
	v_mul_f64_e32 v[16:17], v[34:35], v[122:123]
	v_fma_f64 v[34:35], v[32:33], v[122:123], -v[4:5]
	v_fma_f64 v[4:5], v[44:45], v[124:125], v[6:7]
	v_add_f64_e32 v[6:7], v[116:117], v[0:1]
	s_delay_alu instid0(VALU_DEP_4)
	v_fma_f64 v[32:33], v[32:33], v[120:121], v[16:17]
	v_fma_f64 v[16:17], v[52:53], v[144:145], v[22:23]
	v_fma_f64 v[22:23], v[60:61], v[142:143], -v[30:31]
	v_fma_f64 v[30:31], v[68:69], v[154:155], -v[58:59]
	v_add_f64_e64 v[58:59], v[14:15], -v[42:43]
	v_mul_f64_e32 v[142:143], s[34:35], v[48:49]
	v_mul_f64_e32 v[144:145], s[22:23], v[46:47]
	;; [unrolled: 1-line block ×5, first 2 shown]
	v_add_f64_e32 v[68:69], v[24:25], v[28:29]
	v_add_f64_e64 v[44:45], v[2:3], -v[34:35]
	v_add_f64_e32 v[2:3], v[2:3], v[34:35]
	v_add_f64_e32 v[6:7], v[6:7], v[4:5]
	;; [unrolled: 1-line block ×3, first 2 shown]
	v_add_f64_e64 v[0:1], v[0:1], -v[32:33]
	v_add_f64_e32 v[54:55], v[4:5], v[38:39]
	v_add_f64_e64 v[4:5], v[4:5], -v[38:39]
	v_add_f64_e32 v[60:61], v[16:17], v[20:21]
	;; [unrolled: 2-line block ×4, first 2 shown]
	v_add_f64_e32 v[70:71], v[26:27], v[30:31]
	v_add_f64_e64 v[74:75], v[26:27], -v[30:31]
	v_fma_f64 v[26:27], v[56:57], s[14:15], v[156:157]
	v_fma_f64 v[213:214], v[58:59], s[12:13], v[158:159]
	v_fma_f64 v[156:157], v[56:57], s[14:15], -v[156:157]
	v_fma_f64 v[158:159], v[58:59], s[16:17], v[158:159]
	v_mul_f64_e32 v[120:121], s[0:1], v[44:45]
	v_mul_f64_e32 v[122:123], s[2:3], v[2:3]
	v_add_f64_e32 v[6:7], v[6:7], v[14:15]
	v_mul_f64_e32 v[124:125], s[12:13], v[44:45]
	v_mul_f64_e32 v[126:127], s[14:15], v[2:3]
	;; [unrolled: 1-line block ×10, first 2 shown]
	v_fma_f64 v[195:196], v[54:55], s[26:27], v[12:13]
	v_fma_f64 v[197:198], v[4:5], s[28:29], v[138:139]
	v_fma_f64 v[199:200], v[54:55], s[34:35], v[140:141]
	v_fma_f64 v[201:202], v[4:5], s[30:31], v[142:143]
	v_fma_f64 v[203:204], v[54:55], s[20:21], v[144:145]
	v_fma_f64 v[205:206], v[4:5], s[18:19], v[146:147]
	v_fma_f64 v[144:145], v[54:55], s[20:21], -v[144:145]
	v_fma_f64 v[209:210], v[4:5], s[0:1], v[48:49]
	v_fma_f64 v[138:139], v[4:5], s[24:25], v[138:139]
	;; [unrolled: 1-line block ×4, first 2 shown]
	v_fma_f64 v[140:141], v[54:55], s[34:35], -v[140:141]
	v_fma_f64 v[12:13], v[54:55], s[26:27], -v[12:13]
	v_mul_f64_e32 v[166:167], s[26:27], v[62:63]
	v_mul_f64_e32 v[168:169], s[22:23], v[64:65]
	v_mul_f64_e32 v[170:171], s[20:21], v[62:63]
	v_mul_f64_e32 v[172:173], s[0:1], v[64:65]
	v_mul_f64_e32 v[174:175], s[2:3], v[62:63]
	v_mul_f64_e32 v[164:165], s[24:25], v[64:65]
	v_add_f64_e32 v[8:9], v[8:9], v[22:23]
	v_mul_f64_e32 v[30:31], s[30:31], v[74:75]
	v_fma_f64 v[176:177], v[52:53], s[2:3], v[120:121]
	v_fma_f64 v[178:179], v[0:1], s[10:11], v[122:123]
	v_add_f64_e32 v[6:7], v[6:7], v[16:17]
	v_fma_f64 v[122:123], v[0:1], s[0:1], v[122:123]
	v_fma_f64 v[182:183], v[52:53], s[14:15], v[124:125]
	v_fma_f64 v[184:185], v[0:1], s[16:17], v[126:127]
	v_fma_f64 v[187:188], v[52:53], s[20:21], v[128:129]
	v_fma_f64 v[16:17], v[0:1], s[22:23], v[130:131]
	v_fma_f64 v[18:19], v[52:53], s[26:27], v[132:133]
	v_fma_f64 v[189:190], v[0:1], s[28:29], v[134:135]
	v_fma_f64 v[132:133], v[52:53], s[26:27], -v[132:133]
	v_fma_f64 v[191:192], v[52:53], s[34:35], v[44:45]
	v_fma_f64 v[193:194], v[0:1], s[36:37], v[2:3]
	;; [unrolled: 1-line block ×5, first 2 shown]
	v_fma_f64 v[44:45], v[52:53], s[34:35], -v[44:45]
	v_fma_f64 v[0:1], v[0:1], s[30:31], v[2:3]
	v_fma_f64 v[128:129], v[52:53], s[20:21], -v[128:129]
	v_fma_f64 v[124:125], v[52:53], s[14:15], -v[124:125]
	;; [unrolled: 1-line block ×3, first 2 shown]
	v_fma_f64 v[2:3], v[54:55], s[14:15], v[14:15]
	v_fma_f64 v[52:53], v[4:5], s[16:17], v[136:137]
	;; [unrolled: 1-line block ×4, first 2 shown]
	v_fma_f64 v[46:47], v[54:55], s[2:3], -v[46:47]
	v_fma_f64 v[4:5], v[4:5], s[10:11], v[48:49]
	v_fma_f64 v[14:15], v[54:55], s[14:15], -v[14:15]
	v_fma_f64 v[48:49], v[56:57], s[20:21], v[148:149]
	v_fma_f64 v[54:55], v[58:59], s[22:23], v[150:151]
	;; [unrolled: 1-line block ×3, first 2 shown]
	v_fma_f64 v[148:149], v[56:57], s[20:21], -v[148:149]
	v_fma_f64 v[22:23], v[60:61], s[2:3], v[172:173]
	v_add_f64_e32 v[8:9], v[8:9], v[40:41]
	v_add_f64_e32 v[176:177], v[116:117], v[176:177]
	;; [unrolled: 1-line block ×22, first 2 shown]
	v_fma_f64 v[24:25], v[58:59], s[30:31], v[154:155]
	v_fma_f64 v[154:155], v[58:59], s[36:37], v[154:155]
	;; [unrolled: 1-line block ×3, first 2 shown]
	v_fma_f64 v[118:119], v[56:57], s[2:3], -v[160:161]
	v_fma_f64 v[160:161], v[58:59], s[0:1], v[162:163]
	v_fma_f64 v[162:163], v[56:57], s[26:27], v[10:11]
	v_fma_f64 v[10:11], v[56:57], s[26:27], -v[10:11]
	v_fma_f64 v[56:57], v[58:59], s[28:29], v[50:51]
	v_fma_f64 v[50:51], v[58:59], s[24:25], v[50:51]
	v_mul_f64_e32 v[58:59], s[30:31], v[64:65]
	v_mul_f64_e32 v[64:65], s[16:17], v[64:65]
	v_add_f64_e32 v[8:9], v[8:9], v[36:37]
	v_add_f64_e32 v[2:3], v[2:3], v[176:177]
	v_mul_f64_e32 v[176:177], s[34:35], v[70:71]
	v_add_f64_e32 v[6:7], v[6:7], v[28:29]
	v_add_f64_e32 v[122:123], v[136:137], v[122:123]
	;; [unrolled: 1-line block ×6, first 2 shown]
	v_mul_f64_e32 v[28:29], s[34:35], v[62:63]
	v_add_f64_e32 v[18:19], v[203:204], v[18:19]
	v_add_f64_e32 v[189:190], v[205:206], v[189:190]
	v_mul_f64_e32 v[62:63], s[14:15], v[62:63]
	v_add_f64_e32 v[132:133], v[144:145], v[132:133]
	v_add_f64_e32 v[144:145], v[207:208], v[191:192]
	;; [unrolled: 1-line block ×11, first 2 shown]
	v_mul_f64_e32 v[120:121], s[10:11], v[74:75]
	v_mul_f64_e32 v[136:137], s[2:3], v[70:71]
	v_fma_f64 v[140:141], v[66:67], s[28:29], v[166:167]
	v_fma_f64 v[166:167], v[66:67], s[24:25], v[166:167]
	;; [unrolled: 1-line block ×4, first 2 shown]
	v_mul_f64_e32 v[195:196], s[24:25], v[74:75]
	v_mul_f64_e32 v[197:198], s[26:27], v[70:71]
	;; [unrolled: 1-line block ×5, first 2 shown]
	v_fma_f64 v[138:139], v[60:61], s[34:35], v[58:59]
	v_mul_f64_e32 v[70:71], s[20:21], v[70:71]
	v_fma_f64 v[130:131], v[60:61], s[2:3], -v[172:173]
	v_fma_f64 v[146:147], v[60:61], s[14:15], v[64:65]
	v_add_f64_e32 v[2:3], v[48:49], v[2:3]
	v_fma_f64 v[201:202], v[60:61], s[26:27], v[164:165]
	v_add_f64_e32 v[6:7], v[6:7], v[20:21]
	v_add_f64_e32 v[20:21], v[52:53], v[178:179]
	;; [unrolled: 1-line block ×5, first 2 shown]
	v_fma_f64 v[52:53], v[66:67], s[10:11], v[174:175]
	v_add_f64_e32 v[26:27], v[26:27], v[187:188]
	v_add_f64_e32 v[16:17], v[213:214], v[16:17]
	v_fma_f64 v[142:143], v[66:67], s[36:37], v[28:29]
	v_add_f64_e32 v[18:19], v[215:216], v[18:19]
	v_add_f64_e32 v[116:117], v[116:117], v[189:190]
	;; [unrolled: 3-line block ×3, first 2 shown]
	v_add_f64_e32 v[56:57], v[56:57], v[191:192]
	v_fma_f64 v[164:165], v[60:61], s[26:27], -v[164:165]
	v_fma_f64 v[168:169], v[60:61], s[20:21], -v[168:169]
	v_fma_f64 v[58:59], v[60:61], s[34:35], -v[58:59]
	v_fma_f64 v[60:61], v[60:61], s[14:15], -v[64:65]
	v_fma_f64 v[62:63], v[66:67], s[16:17], v[62:63]
	v_add_f64_e32 v[10:11], v[10:11], v[44:45]
	v_add_f64_e32 v[0:1], v[50:51], v[0:1]
	v_fma_f64 v[28:29], v[66:67], s[30:31], v[28:29]
	v_add_f64_e32 v[4:5], v[160:161], v[4:5]
	v_fma_f64 v[134:135], v[66:67], s[0:1], v[174:175]
	v_add_f64_e32 v[128:129], v[156:157], v[128:129]
	v_add_f64_e32 v[44:45], v[158:159], v[46:47]
	v_fma_f64 v[170:171], v[66:67], s[22:23], v[170:171]
	v_add_f64_e32 v[12:13], v[152:153], v[12:13]
	v_add_f64_e32 v[46:47], v[154:155], v[126:127]
	;; [unrolled: 1-line block ×3, first 2 shown]
	v_fma_f64 v[50:51], v[68:69], s[2:3], v[120:121]
	v_fma_f64 v[126:127], v[72:73], s[10:11], v[136:137]
	;; [unrolled: 1-line block ×4, first 2 shown]
	v_fma_f64 v[30:31], v[68:69], s[34:35], -v[30:31]
	v_fma_f64 v[120:121], v[68:69], s[2:3], -v[120:121]
	;; [unrolled: 1-line block ×3, first 2 shown]
	v_add_f64_e32 v[6:7], v[6:7], v[42:43]
	v_add_f64_e32 v[20:21], v[54:55], v[20:21]
	v_fma_f64 v[54:55], v[72:73], s[0:1], v[136:137]
	v_add_f64_e32 v[42:43], v[166:167], v[48:49]
	v_add_f64_e32 v[48:49], v[203:204], v[122:123]
	;; [unrolled: 1-line block ×3, first 2 shown]
	v_fma_f64 v[136:137], v[68:69], s[26:27], v[195:196]
	v_add_f64_e32 v[22:23], v[22:23], v[26:27]
	v_add_f64_e32 v[16:17], v[52:53], v[16:17]
	v_fma_f64 v[152:153], v[68:69], s[14:15], v[124:125]
	v_fma_f64 v[154:155], v[72:73], s[12:13], v[199:200]
	v_fma_f64 v[124:125], v[68:69], s[14:15], -v[124:125]
	v_fma_f64 v[158:159], v[68:69], s[20:21], v[74:75]
	v_fma_f64 v[74:75], v[68:69], s[20:21], -v[74:75]
	v_add_f64_e32 v[18:19], v[138:139], v[18:19]
	v_add_f64_e32 v[68:69], v[142:143], v[116:117]
	v_fma_f64 v[174:175], v[72:73], s[36:37], v[176:177]
	v_fma_f64 v[66:67], v[72:73], s[30:31], v[176:177]
	v_fma_f64 v[150:151], v[72:73], s[24:25], v[197:198]
	v_fma_f64 v[156:157], v[72:73], s[16:17], v[199:200]
	v_fma_f64 v[160:161], v[72:73], s[22:23], v[70:71]
	v_fma_f64 v[162:163], v[72:73], s[18:19], v[70:71]
	v_add_f64_e32 v[70:71], v[146:147], v[132:133]
	v_add_f64_e32 v[72:73], v[172:173], v[56:57]
	;; [unrolled: 1-line block ×36, first 2 shown]
	ds_store_b128 v186, v[44:47] offset:128
	ds_store_b128 v186, v[52:55] offset:192
	;; [unrolled: 1-line block ×9, first 2 shown]
	ds_store_b128 v186, v[32:35]
	ds_store_b128 v186, v[36:39] offset:64
	global_wb scope:SCOPE_SE
	s_wait_dscnt 0x0
	s_barrier_signal -1
	s_barrier_wait -1
	global_inv scope:SCOPE_SE
	ds_load_b128 v[32:35], v181 offset:704
	ds_load_b128 v[44:47], v181
	ds_load_b128 v[38:41], v181 offset:7040
	ds_load_b128 v[48:51], v181 offset:1408
	;; [unrolled: 1-line block ×9, first 2 shown]
	s_wait_dscnt 0x5
	v_mul_f64_e32 v[12:13], v[98:99], v[56:57]
	v_mul_f64_e32 v[0:1], v[78:79], v[34:35]
	;; [unrolled: 1-line block ×7, first 2 shown]
	s_wait_dscnt 0x4
	v_mul_f64_e32 v[14:15], v[114:115], v[60:61]
	v_mul_f64_e32 v[16:17], v[90:91], v[40:41]
	;; [unrolled: 1-line block ×4, first 2 shown]
	s_wait_dscnt 0x3
	v_mul_f64_e32 v[22:23], v[94:95], v[66:67]
	v_mul_f64_e32 v[26:27], v[94:95], v[64:65]
	s_wait_dscnt 0x1
	v_mul_f64_e32 v[30:31], v[110:111], v[72:73]
	s_wait_dscnt 0x0
	v_mul_f64_e32 v[78:79], v[106:107], v[116:117]
	v_mul_f64_e32 v[86:87], v[102:103], v[68:69]
	;; [unrolled: 1-line block ×5, first 2 shown]
	v_fma_f64 v[12:13], v[96:97], v[58:59], -v[12:13]
	v_fma_f64 v[0:1], v[76:77], v[32:33], v[0:1]
	v_fma_f64 v[2:3], v[76:77], v[34:35], -v[2:3]
	v_fma_f64 v[32:33], v[88:89], v[40:41], -v[4:5]
	;; [unrolled: 1-line block ×4, first 2 shown]
	v_fma_f64 v[6:7], v[80:81], v[48:49], v[10:11]
	v_fma_f64 v[40:41], v[112:113], v[62:63], -v[14:15]
	v_fma_f64 v[34:35], v[88:89], v[38:39], v[16:17]
	v_fma_f64 v[14:15], v[96:97], v[56:57], v[18:19]
	;; [unrolled: 1-line block ×4, first 2 shown]
	v_fma_f64 v[18:19], v[92:93], v[66:67], -v[26:27]
	v_fma_f64 v[22:23], v[108:109], v[74:75], -v[30:31]
	;; [unrolled: 1-line block ×4, first 2 shown]
	v_mul_f64_e32 v[76:77], v[106:107], v[118:119]
	v_fma_f64 v[20:21], v[108:109], v[72:73], v[28:29]
	v_fma_f64 v[28:29], v[100:101], v[68:69], v[82:83]
	;; [unrolled: 1-line block ×3, first 2 shown]
	v_add_f64_e32 v[8:9], v[44:45], v[0:1]
	v_add_f64_e32 v[10:11], v[46:47], v[2:3]
	v_add_f64_e64 v[48:49], v[2:3], -v[32:33]
	v_add_f64_e32 v[2:3], v[2:3], v[32:33]
	v_add_f64_e64 v[50:51], v[4:5], -v[36:37]
	v_add_f64_e32 v[52:53], v[4:5], v[36:37]
	v_add_f64_e32 v[54:55], v[12:13], v[40:41]
	;; [unrolled: 1-line block ×3, first 2 shown]
	v_add_f64_e64 v[0:1], v[0:1], -v[34:35]
	v_add_f64_e32 v[58:59], v[6:7], v[38:39]
	v_add_f64_e32 v[66:67], v[18:19], v[22:23]
	v_add_f64_e64 v[68:69], v[18:19], -v[22:23]
	v_add_f64_e32 v[74:75], v[26:27], v[30:31]
	v_fma_f64 v[24:25], v[104:105], v[116:117], v[76:77]
	v_add_f64_e32 v[64:65], v[16:17], v[20:21]
	v_add_f64_e64 v[70:71], v[16:17], -v[20:21]
	v_add_f64_e32 v[60:61], v[14:15], v[42:43]
	v_add_f64_e64 v[62:63], v[14:15], -v[42:43]
	v_add_f64_e64 v[78:79], v[26:27], -v[30:31]
	v_add_f64_e32 v[8:9], v[8:9], v[6:7]
	v_add_f64_e32 v[4:5], v[10:11], v[4:5]
	v_mul_f64_e32 v[80:81], s[0:1], v[48:49]
	v_mul_f64_e32 v[82:83], s[2:3], v[2:3]
	;; [unrolled: 1-line block ×10, first 2 shown]
	v_add_f64_e64 v[10:11], v[12:13], -v[40:41]
	v_add_f64_e64 v[6:7], v[6:7], -v[38:39]
	v_mul_f64_e32 v[96:97], s[12:13], v[50:51]
	v_mul_f64_e32 v[98:99], s[14:15], v[52:53]
	;; [unrolled: 1-line block ×14, first 2 shown]
	v_add_f64_e32 v[72:73], v[24:25], v[28:29]
	v_add_f64_e64 v[76:77], v[24:25], -v[28:29]
	v_mul_f64_e32 v[54:55], s[26:27], v[54:55]
	v_mul_f64_e32 v[124:125], s[24:25], v[68:69]
	v_mul_f64_e32 v[126:127], s[26:27], v[66:67]
	v_mul_f64_e32 v[128:129], s[22:23], v[68:69]
	v_mul_f64_e32 v[130:131], s[20:21], v[66:67]
	v_mul_f64_e32 v[132:133], s[0:1], v[68:69]
	v_mul_f64_e32 v[134:135], s[2:3], v[66:67]
	v_mul_f64_e32 v[136:137], s[30:31], v[68:69]
	v_add_f64_e32 v[8:9], v[8:9], v[14:15]
	v_add_f64_e32 v[4:5], v[4:5], v[12:13]
	v_mul_f64_e32 v[12:13], s[26:27], v[52:53]
	v_mul_f64_e32 v[14:15], s[36:37], v[50:51]
	v_fma_f64 v[156:157], v[56:57], s[14:15], v[84:85]
	v_fma_f64 v[158:159], v[0:1], s[16:17], v[86:87]
	v_fma_f64 v[84:85], v[56:57], s[14:15], -v[84:85]
	v_fma_f64 v[160:161], v[56:57], s[20:21], v[88:89]
	v_fma_f64 v[162:163], v[0:1], s[22:23], v[90:91]
	v_fma_f64 v[88:89], v[56:57], s[20:21], -v[88:89]
	v_fma_f64 v[164:165], v[56:57], s[26:27], v[92:93]
	v_fma_f64 v[166:167], v[0:1], s[28:29], v[94:95]
	v_mul_f64_e32 v[50:51], s[10:11], v[50:51]
	v_mul_f64_e32 v[52:53], s[2:3], v[52:53]
	v_fma_f64 v[92:93], v[56:57], s[26:27], -v[92:93]
	v_fma_f64 v[168:169], v[56:57], s[34:35], v[48:49]
	v_fma_f64 v[170:171], v[0:1], s[36:37], v[2:3]
	;; [unrolled: 1-line block ×5, first 2 shown]
	v_fma_f64 v[48:49], v[56:57], s[34:35], -v[48:49]
	v_mul_f64_e32 v[108:109], s[18:19], v[10:11]
	v_mul_f64_e32 v[112:113], s[36:37], v[10:11]
	v_fma_f64 v[172:173], v[58:59], s[26:27], v[100:101]
	v_mul_f64_e32 v[116:117], s[16:17], v[10:11]
	v_fma_f64 v[100:101], v[58:59], s[26:27], -v[100:101]
	v_fma_f64 v[178:179], v[6:7], s[30:31], v[102:103]
	v_mul_f64_e32 v[120:121], s[0:1], v[10:11]
	v_fma_f64 v[182:183], v[58:59], s[20:21], v[104:105]
	v_fma_f64 v[184:185], v[6:7], s[18:19], v[106:107]
	v_mul_f64_e32 v[10:11], s[24:25], v[10:11]
	v_fma_f64 v[104:105], v[58:59], s[20:21], -v[104:105]
	v_fma_f64 v[102:103], v[6:7], s[36:37], v[102:103]
	v_fma_f64 v[188:189], v[62:63], s[30:31], v[114:115]
	;; [unrolled: 1-line block ×3, first 2 shown]
	v_mul_f64_e32 v[138:139], s[34:35], v[66:67]
	v_mul_f64_e32 v[68:69], s[16:17], v[68:69]
	;; [unrolled: 1-line block ×3, first 2 shown]
	v_add_f64_e32 v[8:9], v[8:9], v[16:17]
	v_add_f64_e32 v[4:5], v[4:5], v[18:19]
	v_mul_f64_e32 v[16:17], s[20:21], v[74:75]
	v_fma_f64 v[18:19], v[56:57], s[2:3], v[80:81]
	v_fma_f64 v[74:75], v[0:1], s[10:11], v[82:83]
	v_fma_f64 v[80:81], v[56:57], s[2:3], -v[80:81]
	v_fma_f64 v[82:83], v[0:1], s[0:1], v[82:83]
	v_fma_f64 v[0:1], v[0:1], s[30:31], v[2:3]
	;; [unrolled: 1-line block ×4, first 2 shown]
	v_fma_f64 v[96:97], v[58:59], s[14:15], -v[96:97]
	v_fma_f64 v[98:99], v[6:7], s[12:13], v[98:99]
	v_fma_f64 v[174:175], v[6:7], s[28:29], v[12:13]
	v_add_f64_e32 v[156:157], v[44:45], v[156:157]
	v_add_f64_e32 v[158:159], v[46:47], v[158:159]
	v_fma_f64 v[176:177], v[58:59], s[34:35], v[14:15]
	v_add_f64_e32 v[84:85], v[44:45], v[84:85]
	v_add_f64_e32 v[160:161], v[44:45], v[160:161]
	;; [unrolled: 1-line block ×3, first 2 shown]
	v_fma_f64 v[14:15], v[58:59], s[34:35], -v[14:15]
	v_add_f64_e32 v[88:89], v[44:45], v[88:89]
	v_add_f64_e32 v[164:165], v[44:45], v[164:165]
	;; [unrolled: 1-line block ×6, first 2 shown]
	v_fma_f64 v[12:13], v[6:7], s[24:25], v[12:13]
	v_add_f64_e32 v[90:91], v[46:47], v[90:91]
	v_add_f64_e32 v[86:87], v[46:47], v[86:87]
	v_fma_f64 v[186:187], v[60:61], s[34:35], v[112:113]
	v_fma_f64 v[190:191], v[60:61], s[14:15], v[116:117]
	v_fma_f64 v[112:113], v[60:61], s[34:35], -v[112:113]
	v_fma_f64 v[116:117], v[60:61], s[14:15], -v[116:117]
	v_fma_f64 v[118:119], v[62:63], s[16:17], v[118:119]
	v_fma_f64 v[114:115], v[62:63], s[36:37], v[114:115]
	v_mul_f64_e32 v[144:145], s[10:11], v[78:79]
	v_fma_f64 v[194:195], v[64:65], s[20:21], v[128:129]
	v_fma_f64 v[196:197], v[70:71], s[18:19], v[130:131]
	v_add_f64_e32 v[8:9], v[8:9], v[24:25]
	v_add_f64_e32 v[4:5], v[4:5], v[26:27]
	v_fma_f64 v[24:25], v[6:7], s[22:23], v[106:107]
	v_add_f64_e32 v[18:19], v[44:45], v[18:19]
	v_fma_f64 v[26:27], v[58:59], s[2:3], v[50:51]
	v_add_f64_e32 v[80:81], v[44:45], v[80:81]
	v_add_f64_e32 v[82:83], v[46:47], v[82:83]
	v_fma_f64 v[106:107], v[6:7], s[0:1], v[52:53]
	v_fma_f64 v[50:51], v[58:59], s[2:3], -v[50:51]
	v_fma_f64 v[6:7], v[6:7], s[10:11], v[52:53]
	v_add_f64_e32 v[44:45], v[44:45], v[48:49]
	v_add_f64_e32 v[0:1], v[46:47], v[0:1]
	;; [unrolled: 1-line block ×3, first 2 shown]
	v_fma_f64 v[52:53], v[60:61], s[20:21], v[108:109]
	v_fma_f64 v[58:59], v[62:63], s[22:23], v[110:111]
	;; [unrolled: 1-line block ×3, first 2 shown]
	v_add_f64_e32 v[84:85], v[100:101], v[84:85]
	v_fma_f64 v[108:109], v[60:61], s[20:21], -v[108:109]
	v_add_f64_e32 v[100:101], v[178:179], v[162:163]
	v_fma_f64 v[94:95], v[62:63], s[0:1], v[122:123]
	v_add_f64_e32 v[14:15], v[14:15], v[88:89]
	v_add_f64_e32 v[88:89], v[182:183], v[164:165]
	v_mul_f64_e32 v[148:149], s[24:25], v[78:79]
	v_add_f64_e32 v[92:93], v[104:105], v[92:93]
	v_mul_f64_e32 v[140:141], s[30:31], v[78:79]
	v_mul_f64_e32 v[152:153], s[16:17], v[78:79]
	;; [unrolled: 1-line block ×3, first 2 shown]
	v_fma_f64 v[128:129], v[64:65], s[20:21], -v[128:129]
	v_add_f64_e32 v[12:13], v[12:13], v[86:87]
	v_fma_f64 v[86:87], v[70:71], s[36:37], v[138:139]
	v_fma_f64 v[130:131], v[70:71], s[22:23], v[130:131]
	v_add_f64_e32 v[8:9], v[8:9], v[28:29]
	v_add_f64_e32 v[4:5], v[4:5], v[30:31]
	;; [unrolled: 1-line block ×4, first 2 shown]
	v_fma_f64 v[30:31], v[60:61], s[2:3], v[120:121]
	v_add_f64_e32 v[18:19], v[96:97], v[80:81]
	v_add_f64_e32 v[80:81], v[98:99], v[82:83]
	;; [unrolled: 1-line block ×5, first 2 shown]
	v_fma_f64 v[46:47], v[62:63], s[10:11], v[122:123]
	v_add_f64_e32 v[156:157], v[184:185], v[166:167]
	v_fma_f64 v[74:75], v[60:61], s[2:3], -v[120:121]
	v_fma_f64 v[120:121], v[60:61], s[26:27], v[10:11]
	v_fma_f64 v[122:123], v[62:63], s[28:29], v[54:55]
	v_add_f64_e32 v[26:27], v[26:27], v[168:169]
	v_add_f64_e32 v[104:105], v[106:107], v[170:171]
	v_fma_f64 v[10:11], v[60:61], s[26:27], -v[10:11]
	v_fma_f64 v[54:55], v[62:63], s[24:25], v[54:55]
	v_add_f64_e32 v[44:45], v[50:51], v[44:45]
	v_add_f64_e32 v[0:1], v[6:7], v[0:1]
	;; [unrolled: 1-line block ×4, first 2 shown]
	v_fma_f64 v[60:61], v[64:65], s[26:27], v[124:125]
	v_fma_f64 v[62:63], v[70:71], s[28:29], v[126:127]
	;; [unrolled: 1-line block ×3, first 2 shown]
	v_fma_f64 v[124:125], v[64:65], s[26:27], -v[124:125]
	v_fma_f64 v[48:49], v[64:65], s[2:3], -v[132:133]
	v_fma_f64 v[106:107], v[64:65], s[14:15], v[68:69]
	v_fma_f64 v[90:91], v[64:65], s[34:35], -v[136:137]
	v_fma_f64 v[102:103], v[70:71], s[30:31], v[138:139]
	v_fma_f64 v[50:51], v[70:71], s[0:1], v[134:135]
	v_add_f64_e32 v[84:85], v[112:113], v[84:85]
	v_add_f64_e32 v[14:15], v[116:117], v[14:15]
	;; [unrolled: 1-line block ×3, first 2 shown]
	v_fma_f64 v[112:113], v[76:77], s[12:13], v[154:155]
	v_fma_f64 v[114:115], v[72:73], s[14:15], -v[152:153]
	v_fma_f64 v[116:117], v[76:77], s[16:17], v[154:155]
	v_add_f64_e32 v[8:9], v[8:9], v[20:21]
	v_add_f64_e32 v[4:5], v[4:5], v[22:23]
	;; [unrolled: 1-line block ×4, first 2 shown]
	v_fma_f64 v[22:23], v[64:65], s[2:3], v[132:133]
	v_fma_f64 v[28:29], v[70:71], s[10:11], v[134:135]
	v_add_f64_e32 v[52:53], v[110:111], v[80:81]
	v_add_f64_e32 v[80:81], v[186:187], v[82:83]
	;; [unrolled: 1-line block ×5, first 2 shown]
	v_fma_f64 v[56:57], v[64:65], s[34:35], v[136:137]
	v_add_f64_e32 v[30:31], v[30:31], v[88:89]
	v_add_f64_e32 v[46:47], v[46:47], v[156:157]
	v_fma_f64 v[132:133], v[70:71], s[12:13], v[66:67]
	v_add_f64_e32 v[18:19], v[108:109], v[18:19]
	v_add_f64_e32 v[26:27], v[120:121], v[26:27]
	;; [unrolled: 1-line block ×3, first 2 shown]
	v_fma_f64 v[64:65], v[64:65], s[14:15], -v[68:69]
	v_fma_f64 v[66:67], v[70:71], s[16:17], v[66:67]
	v_add_f64_e32 v[74:75], v[74:75], v[92:93]
	v_add_f64_e32 v[10:11], v[10:11], v[44:45]
	;; [unrolled: 1-line block ×5, first 2 shown]
	v_fma_f64 v[44:45], v[72:73], s[2:3], v[144:145]
	v_fma_f64 v[54:55], v[76:77], s[0:1], v[146:147]
	;; [unrolled: 1-line block ×5, first 2 shown]
	v_fma_f64 v[70:71], v[72:73], s[34:35], -v[140:141]
	v_fma_f64 v[104:105], v[72:73], s[26:27], -v[148:149]
	v_fma_f64 v[110:111], v[72:73], s[14:15], v[152:153]
	v_fma_f64 v[118:119], v[72:73], s[20:21], v[78:79]
	;; [unrolled: 1-line block ×6, first 2 shown]
	v_add_f64_e32 v[8:9], v[8:9], v[42:43]
	v_add_f64_e32 v[4:5], v[4:5], v[40:41]
	;; [unrolled: 1-line block ×4, first 2 shown]
	v_fma_f64 v[58:59], v[72:73], s[2:3], -v[144:145]
	v_fma_f64 v[72:73], v[72:73], s[20:21], -v[78:79]
	v_add_f64_e32 v[42:43], v[126:127], v[52:53]
	v_add_f64_e32 v[52:53], v[194:195], v[80:81]
	;; [unrolled: 1-line block ×5, first 2 shown]
	v_fma_f64 v[92:93], v[76:77], s[10:11], v[146:147]
	v_add_f64_e32 v[30:31], v[56:57], v[30:31]
	v_add_f64_e32 v[78:79], v[86:87], v[46:47]
	v_fma_f64 v[108:109], v[76:77], s[24:25], v[150:151]
	v_add_f64_e32 v[18:19], v[124:125], v[18:19]
	v_add_f64_e32 v[26:27], v[106:107], v[26:27]
	;; [unrolled: 1-line block ×11, first 2 shown]
	s_mul_u64 s[2:3], s[4:5], 0x79
	s_wait_alu 0xfffe
	s_lshl_b64 s[2:3], s[2:3], 4
	v_add_f64_e32 v[8:9], v[8:9], v[38:39]
	v_add_f64_e32 v[4:5], v[4:5], v[36:37]
	;; [unrolled: 1-line block ×25, first 2 shown]
	ds_store_b128 v181, v[44:47] offset:1408
	ds_store_b128 v181, v[52:55] offset:2112
	;; [unrolled: 1-line block ×9, first 2 shown]
	ds_store_b128 v181, v[76:79]
	ds_store_b128 v181, v[36:39] offset:704
	global_wb scope:SCOPE_SE
	s_wait_dscnt 0x0
	s_barrier_signal -1
	s_barrier_wait -1
	global_inv scope:SCOPE_SE
	ds_load_b128 v[32:35], v181
	ds_load_b128 v[36:39], v181 offset:1936
	ds_load_b128 v[40:43], v181 offset:3872
	;; [unrolled: 1-line block ×7, first 2 shown]
	s_clause 0x4
	scratch_load_b128 v[79:82], off, off offset:64 th:TH_LOAD_LU
	scratch_load_b128 v[75:78], off, off offset:48 th:TH_LOAD_LU
	;; [unrolled: 1-line block ×4, first 2 shown]
	scratch_load_b64 v[64:65], off, off offset:16 th:TH_LOAD_LU
	v_mad_co_u64_u32 v[66:67], null, s4, v255, 0
	s_wait_loadcnt_dscnt 0x407
	v_mul_f64_e32 v[0:1], v[81:82], v[34:35]
	v_mul_f64_e32 v[2:3], v[81:82], v[32:33]
	scratch_load_b128 v[81:84], off, off offset:80 th:TH_LOAD_LU ; 16-byte Folded Reload
	s_wait_loadcnt_dscnt 0x306
	v_mul_f64_e32 v[4:5], v[87:88], v[38:39]
	v_mul_f64_e32 v[6:7], v[87:88], v[36:37]
	scratch_load_b128 v[87:90], off, off offset:112 th:TH_LOAD_LU ; 16-byte Folded Reload
	s_wait_dscnt 0x5
	v_mul_f64_e32 v[8:9], v[77:78], v[42:43]
	v_mul_f64_e32 v[10:11], v[77:78], v[40:41]
	s_wait_loadcnt_dscnt 0x304
	v_mul_f64_e32 v[12:13], v[73:74], v[46:47]
	v_mul_f64_e32 v[14:15], v[73:74], v[44:45]
	s_wait_loadcnt 0x2
	v_mov_b32_e32 v68, v64
	s_delay_alu instid0(VALU_DEP_1) | instskip(NEXT) | instid1(VALU_DEP_1)
	v_mad_co_u64_u32 v[64:65], null, s6, v68, 0
	v_mad_co_u64_u32 v[68:69], null, s7, v68, v[65:66]
	v_mov_b32_e32 v65, v67
	s_mov_b32 s6, 0x6be69c90
	s_mov_b32 s7, 0x3f60ecf5
	s_delay_alu instid0(VALU_DEP_1) | instskip(NEXT) | instid1(VALU_DEP_3)
	v_mad_co_u64_u32 v[69:70], null, s5, v255, v[65:66]
	v_mov_b32_e32 v65, v68
	v_fma_f64 v[0:1], v[79:80], v[32:33], v[0:1]
	v_fma_f64 v[32:33], v[79:80], v[34:35], -v[2:3]
	s_delay_alu instid0(VALU_DEP_4)
	v_mov_b32_e32 v67, v69
	v_fma_f64 v[34:35], v[85:86], v[36:37], v[4:5]
	v_fma_f64 v[36:37], v[85:86], v[38:39], -v[6:7]
	v_lshlrev_b64_e32 v[2:3], 4, v[64:65]
	v_fma_f64 v[38:39], v[75:76], v[40:41], v[8:9]
	v_fma_f64 v[40:41], v[75:76], v[42:43], -v[10:11]
	v_fma_f64 v[42:43], v[71:72], v[44:45], v[12:13]
	v_fma_f64 v[44:45], v[71:72], v[46:47], -v[14:15]
	v_lshlrev_b64_e32 v[4:5], 4, v[66:67]
	v_add_co_u32 v2, s0, s8, v2
	s_wait_alu 0xf1ff
	v_add_co_ci_u32_e64 v3, s0, s9, v3, s0
	s_movk_i32 s8, 0xfec1
	s_mov_b32 s9, -1
	s_wait_alu 0xfffe
	s_mul_u64 s[4:5], s[4:5], s[8:9]
	s_wait_alu 0xfffe
	s_lshl_b64 s[4:5], s[4:5], 4
	v_mul_f64_e32 v[6:7], s[6:7], v[34:35]
	v_mul_f64_e32 v[8:9], s[6:7], v[36:37]
	;; [unrolled: 1-line block ×5, first 2 shown]
	s_wait_loadcnt_dscnt 0x103
	v_mul_f64_e32 v[16:17], v[83:84], v[50:51]
	v_mul_f64_e32 v[18:19], v[83:84], v[48:49]
	s_wait_loadcnt_dscnt 0x2
	v_mul_f64_e32 v[20:21], v[89:90], v[54:55]
	v_mul_f64_e32 v[22:23], v[89:90], v[52:53]
	scratch_load_b128 v[89:92], off, off offset:128 th:TH_LOAD_LU ; 16-byte Folded Reload
	v_fma_f64 v[46:47], v[81:82], v[48:49], v[16:17]
	v_fma_f64 v[48:49], v[81:82], v[50:51], -v[18:19]
	v_mul_f64_e32 v[16:17], s[6:7], v[44:45]
	v_fma_f64 v[50:51], v[87:88], v[52:53], v[20:21]
	v_fma_f64 v[52:53], v[87:88], v[54:55], -v[22:23]
	v_mul_f64_e32 v[18:19], s[6:7], v[46:47]
	v_mul_f64_e32 v[20:21], s[6:7], v[48:49]
	s_delay_alu instid0(VALU_DEP_4)
	v_mul_f64_e32 v[22:23], s[6:7], v[50:51]
	s_wait_loadcnt_dscnt 0x1
	v_mul_f64_e32 v[24:25], v[91:92], v[58:59]
	v_mul_f64_e32 v[26:27], v[91:92], v[56:57]
	scratch_load_b128 v[91:94], off, off offset:144 th:TH_LOAD_LU ; 16-byte Folded Reload
	v_fma_f64 v[54:55], v[89:90], v[56:57], v[24:25]
	v_fma_f64 v[56:57], v[89:90], v[58:59], -v[26:27]
	v_mul_f64_e32 v[24:25], s[6:7], v[52:53]
	s_delay_alu instid0(VALU_DEP_3) | instskip(SKIP_3) | instid1(VALU_DEP_2)
	v_mul_f64_e32 v[26:27], s[6:7], v[54:55]
	s_wait_loadcnt_dscnt 0x0
	v_mul_f64_e32 v[28:29], v[93:94], v[62:63]
	v_mul_f64_e32 v[30:31], v[93:94], v[60:61]
	v_fma_f64 v[58:59], v[91:92], v[60:61], v[28:29]
	s_delay_alu instid0(VALU_DEP_2)
	v_fma_f64 v[60:61], v[91:92], v[62:63], -v[30:31]
	v_add_co_u32 v62, s0, v2, v4
	s_wait_alu 0xf1ff
	v_add_co_ci_u32_e64 v63, s0, v3, v5, s0
	v_mul_f64_e32 v[2:3], s[6:7], v[0:1]
	v_mul_f64_e32 v[4:5], s[6:7], v[32:33]
	v_add_co_u32 v64, s0, v62, s2
	s_wait_alu 0xf1ff
	v_add_co_ci_u32_e64 v65, s0, s3, v63, s0
	v_mul_f64_e32 v[28:29], s[6:7], v[56:57]
	s_delay_alu instid0(VALU_DEP_3) | instskip(SKIP_1) | instid1(VALU_DEP_3)
	v_add_co_u32 v34, s0, v64, s2
	s_wait_alu 0xf1ff
	v_add_co_ci_u32_e64 v35, s0, s3, v65, s0
	s_delay_alu instid0(VALU_DEP_2) | instskip(SKIP_1) | instid1(VALU_DEP_2)
	v_add_co_u32 v36, s0, v34, s2
	s_wait_alu 0xf1ff
	v_add_co_ci_u32_e64 v37, s0, s3, v35, s0
	s_wait_alu 0xfffe
	s_delay_alu instid0(VALU_DEP_2) | instskip(SKIP_1) | instid1(VALU_DEP_2)
	v_add_co_u32 v38, s0, v36, s4
	s_wait_alu 0xf1ff
	v_add_co_ci_u32_e64 v39, s0, s5, v37, s0
	s_delay_alu instid0(VALU_DEP_2) | instskip(SKIP_1) | instid1(VALU_DEP_2)
	v_add_co_u32 v40, s0, v38, s2
	s_wait_alu 0xf1ff
	v_add_co_ci_u32_e64 v41, s0, s3, v39, s0
	;; [unrolled: 4-line block ×3, first 2 shown]
	v_mul_f64_e32 v[30:31], s[6:7], v[58:59]
	v_mul_f64_e32 v[32:33], s[6:7], v[60:61]
	v_add_co_u32 v0, s0, v42, s2
	s_wait_alu 0xf1ff
	v_add_co_ci_u32_e64 v1, s0, s3, v43, s0
	s_clause 0x4
	global_store_b128 v[62:63], v[2:5], off
	global_store_b128 v[64:65], v[6:9], off
	;; [unrolled: 1-line block ×8, first 2 shown]
	s_and_b32 exec_lo, exec_lo, vcc_lo
	s_cbranch_execz .LBB0_15
; %bb.14:
	s_clause 0x3
	global_load_b128 v[2:5], v[217:218], off offset:1408
	global_load_b128 v[6:9], v[217:218], off offset:3344
	;; [unrolled: 1-line block ×4, first 2 shown]
	ds_load_b128 v[18:21], v181 offset:1408
	ds_load_b128 v[22:25], v181 offset:3344
	;; [unrolled: 1-line block ×4, first 2 shown]
	v_add_co_u32 v0, vcc_lo, v0, s4
	s_wait_alu 0xfffd
	v_add_co_ci_u32_e32 v1, vcc_lo, s5, v1, vcc_lo
	s_wait_loadcnt_dscnt 0x303
	v_mul_f64_e32 v[34:35], v[20:21], v[4:5]
	v_mul_f64_e32 v[4:5], v[18:19], v[4:5]
	s_wait_loadcnt_dscnt 0x202
	v_mul_f64_e32 v[36:37], v[24:25], v[8:9]
	v_mul_f64_e32 v[8:9], v[22:23], v[8:9]
	;; [unrolled: 3-line block ×4, first 2 shown]
	v_fma_f64 v[18:19], v[18:19], v[2:3], v[34:35]
	v_fma_f64 v[4:5], v[2:3], v[20:21], -v[4:5]
	v_fma_f64 v[20:21], v[22:23], v[6:7], v[36:37]
	v_fma_f64 v[8:9], v[6:7], v[24:25], -v[8:9]
	v_fma_f64 v[22:23], v[26:27], v[10:11], v[38:39]
	v_fma_f64 v[12:13], v[10:11], v[28:29], -v[12:13]
	v_fma_f64 v[24:25], v[30:31], v[14:15], v[40:41]
	v_fma_f64 v[16:17], v[14:15], v[32:33], -v[16:17]
	v_mul_f64_e32 v[2:3], s[6:7], v[18:19]
	v_mul_f64_e32 v[4:5], s[6:7], v[4:5]
	;; [unrolled: 1-line block ×8, first 2 shown]
	v_add_co_u32 v18, vcc_lo, v0, s2
	s_wait_alu 0xfffd
	v_add_co_ci_u32_e32 v19, vcc_lo, s3, v1, vcc_lo
	s_delay_alu instid0(VALU_DEP_2) | instskip(SKIP_1) | instid1(VALU_DEP_2)
	v_add_co_u32 v20, vcc_lo, v18, s2
	s_wait_alu 0xfffd
	v_add_co_ci_u32_e32 v21, vcc_lo, s3, v19, vcc_lo
	s_delay_alu instid0(VALU_DEP_2) | instskip(SKIP_1) | instid1(VALU_DEP_2)
	v_add_co_u32 v22, vcc_lo, v20, s2
	s_wait_alu 0xfffd
	v_add_co_ci_u32_e32 v23, vcc_lo, s3, v21, vcc_lo
	global_store_b128 v[0:1], v[2:5], off
	global_store_b128 v[18:19], v[6:9], off
	;; [unrolled: 1-line block ×4, first 2 shown]
.LBB0_15:
	s_nop 0
	s_sendmsg sendmsg(MSG_DEALLOC_VGPRS)
	s_endpgm
	.section	.rodata,"a",@progbits
	.p2align	6, 0x0
	.amdhsa_kernel bluestein_single_back_len484_dim1_dp_op_CI_CI
		.amdhsa_group_segment_fixed_size 7744
		.amdhsa_private_segment_fixed_size 200
		.amdhsa_kernarg_size 104
		.amdhsa_user_sgpr_count 2
		.amdhsa_user_sgpr_dispatch_ptr 0
		.amdhsa_user_sgpr_queue_ptr 0
		.amdhsa_user_sgpr_kernarg_segment_ptr 1
		.amdhsa_user_sgpr_dispatch_id 0
		.amdhsa_user_sgpr_private_segment_size 0
		.amdhsa_wavefront_size32 1
		.amdhsa_uses_dynamic_stack 0
		.amdhsa_enable_private_segment 1
		.amdhsa_system_sgpr_workgroup_id_x 1
		.amdhsa_system_sgpr_workgroup_id_y 0
		.amdhsa_system_sgpr_workgroup_id_z 0
		.amdhsa_system_sgpr_workgroup_info 0
		.amdhsa_system_vgpr_workitem_id 0
		.amdhsa_next_free_vgpr 256
		.amdhsa_next_free_sgpr 40
		.amdhsa_reserve_vcc 1
		.amdhsa_float_round_mode_32 0
		.amdhsa_float_round_mode_16_64 0
		.amdhsa_float_denorm_mode_32 3
		.amdhsa_float_denorm_mode_16_64 3
		.amdhsa_fp16_overflow 0
		.amdhsa_workgroup_processor_mode 1
		.amdhsa_memory_ordered 1
		.amdhsa_forward_progress 0
		.amdhsa_round_robin_scheduling 0
		.amdhsa_exception_fp_ieee_invalid_op 0
		.amdhsa_exception_fp_denorm_src 0
		.amdhsa_exception_fp_ieee_div_zero 0
		.amdhsa_exception_fp_ieee_overflow 0
		.amdhsa_exception_fp_ieee_underflow 0
		.amdhsa_exception_fp_ieee_inexact 0
		.amdhsa_exception_int_div_zero 0
	.end_amdhsa_kernel
	.text
.Lfunc_end0:
	.size	bluestein_single_back_len484_dim1_dp_op_CI_CI, .Lfunc_end0-bluestein_single_back_len484_dim1_dp_op_CI_CI
                                        ; -- End function
	.section	.AMDGPU.csdata,"",@progbits
; Kernel info:
; codeLenInByte = 14904
; NumSgprs: 42
; NumVgprs: 256
; ScratchSize: 200
; MemoryBound: 0
; FloatMode: 240
; IeeeMode: 1
; LDSByteSize: 7744 bytes/workgroup (compile time only)
; SGPRBlocks: 5
; VGPRBlocks: 31
; NumSGPRsForWavesPerEU: 42
; NumVGPRsForWavesPerEU: 256
; Occupancy: 5
; WaveLimiterHint : 1
; COMPUTE_PGM_RSRC2:SCRATCH_EN: 1
; COMPUTE_PGM_RSRC2:USER_SGPR: 2
; COMPUTE_PGM_RSRC2:TRAP_HANDLER: 0
; COMPUTE_PGM_RSRC2:TGID_X_EN: 1
; COMPUTE_PGM_RSRC2:TGID_Y_EN: 0
; COMPUTE_PGM_RSRC2:TGID_Z_EN: 0
; COMPUTE_PGM_RSRC2:TIDIG_COMP_CNT: 0
	.text
	.p2alignl 7, 3214868480
	.fill 96, 4, 3214868480
	.type	__hip_cuid_48a68e68b43874f5,@object ; @__hip_cuid_48a68e68b43874f5
	.section	.bss,"aw",@nobits
	.globl	__hip_cuid_48a68e68b43874f5
__hip_cuid_48a68e68b43874f5:
	.byte	0                               ; 0x0
	.size	__hip_cuid_48a68e68b43874f5, 1

	.ident	"AMD clang version 19.0.0git (https://github.com/RadeonOpenCompute/llvm-project roc-6.4.0 25133 c7fe45cf4b819c5991fe208aaa96edf142730f1d)"
	.section	".note.GNU-stack","",@progbits
	.addrsig
	.addrsig_sym __hip_cuid_48a68e68b43874f5
	.amdgpu_metadata
---
amdhsa.kernels:
  - .args:
      - .actual_access:  read_only
        .address_space:  global
        .offset:         0
        .size:           8
        .value_kind:     global_buffer
      - .actual_access:  read_only
        .address_space:  global
        .offset:         8
        .size:           8
        .value_kind:     global_buffer
      - .actual_access:  read_only
        .address_space:  global
        .offset:         16
        .size:           8
        .value_kind:     global_buffer
      - .actual_access:  read_only
        .address_space:  global
        .offset:         24
        .size:           8
        .value_kind:     global_buffer
      - .actual_access:  read_only
        .address_space:  global
        .offset:         32
        .size:           8
        .value_kind:     global_buffer
      - .offset:         40
        .size:           8
        .value_kind:     by_value
      - .address_space:  global
        .offset:         48
        .size:           8
        .value_kind:     global_buffer
      - .address_space:  global
        .offset:         56
        .size:           8
        .value_kind:     global_buffer
      - .address_space:  global
        .offset:         64
        .size:           8
        .value_kind:     global_buffer
      - .address_space:  global
        .offset:         72
        .size:           8
        .value_kind:     global_buffer
      - .offset:         80
        .size:           4
        .value_kind:     by_value
      - .address_space:  global
        .offset:         88
        .size:           8
        .value_kind:     global_buffer
      - .address_space:  global
        .offset:         96
        .size:           8
        .value_kind:     global_buffer
    .group_segment_fixed_size: 7744
    .kernarg_segment_align: 8
    .kernarg_segment_size: 104
    .language:       OpenCL C
    .language_version:
      - 2
      - 0
    .max_flat_workgroup_size: 44
    .name:           bluestein_single_back_len484_dim1_dp_op_CI_CI
    .private_segment_fixed_size: 200
    .sgpr_count:     42
    .sgpr_spill_count: 0
    .symbol:         bluestein_single_back_len484_dim1_dp_op_CI_CI.kd
    .uniform_work_group_size: 1
    .uses_dynamic_stack: false
    .vgpr_count:     256
    .vgpr_spill_count: 53
    .wavefront_size: 32
    .workgroup_processor_mode: 1
amdhsa.target:   amdgcn-amd-amdhsa--gfx1201
amdhsa.version:
  - 1
  - 2
...

	.end_amdgpu_metadata
